;; amdgpu-corpus repo=ROCm/rocFFT kind=compiled arch=gfx1201 opt=O3
	.text
	.amdgcn_target "amdgcn-amd-amdhsa--gfx1201"
	.amdhsa_code_object_version 6
	.protected	fft_rtc_fwd_len1625_factors_13_5_5_5_wgs_130_tpt_65_halfLds_sp_op_CI_CI_unitstride_sbrr_dirReg ; -- Begin function fft_rtc_fwd_len1625_factors_13_5_5_5_wgs_130_tpt_65_halfLds_sp_op_CI_CI_unitstride_sbrr_dirReg
	.globl	fft_rtc_fwd_len1625_factors_13_5_5_5_wgs_130_tpt_65_halfLds_sp_op_CI_CI_unitstride_sbrr_dirReg
	.p2align	8
	.type	fft_rtc_fwd_len1625_factors_13_5_5_5_wgs_130_tpt_65_halfLds_sp_op_CI_CI_unitstride_sbrr_dirReg,@function
fft_rtc_fwd_len1625_factors_13_5_5_5_wgs_130_tpt_65_halfLds_sp_op_CI_CI_unitstride_sbrr_dirReg: ; @fft_rtc_fwd_len1625_factors_13_5_5_5_wgs_130_tpt_65_halfLds_sp_op_CI_CI_unitstride_sbrr_dirReg
; %bb.0:
	s_clause 0x2
	s_load_b128 s[8:11], s[0:1], 0x0
	s_load_b128 s[4:7], s[0:1], 0x58
	;; [unrolled: 1-line block ×3, first 2 shown]
	v_mul_u32_u24_e32 v1, 0x3f1, v0
	v_mov_b32_e32 v56, 0
	v_mov_b32_e32 v57, 0
	s_delay_alu instid0(VALU_DEP_3) | instskip(SKIP_1) | instid1(VALU_DEP_2)
	v_lshrrev_b32_e32 v58, 16, v1
	v_mov_b32_e32 v1, 0
	v_lshl_add_u32 v3, ttmp9, 1, v58
	s_delay_alu instid0(VALU_DEP_2) | instskip(SKIP_2) | instid1(VALU_DEP_1)
	v_mov_b32_e32 v4, v1
	s_wait_kmcnt 0x0
	v_cmp_lt_u64_e64 s2, s[10:11], 2
	s_and_b32 vcc_lo, exec_lo, s2
	s_cbranch_vccnz .LBB0_8
; %bb.1:
	s_load_b64 s[2:3], s[0:1], 0x10
	v_mov_b32_e32 v56, 0
	v_mov_b32_e32 v57, 0
	s_delay_alu instid0(VALU_DEP_2)
	v_mov_b32_e32 v28, v56
	s_add_nc_u64 s[16:17], s[14:15], 8
	s_add_nc_u64 s[18:19], s[12:13], 8
	s_mov_b64 s[20:21], 1
	v_mov_b32_e32 v29, v57
	s_wait_kmcnt 0x0
	s_add_nc_u64 s[22:23], s[2:3], 8
	s_mov_b32 s3, 0
.LBB0_2:                                ; =>This Inner Loop Header: Depth=1
	s_load_b64 s[24:25], s[22:23], 0x0
                                        ; implicit-def: $vgpr30_vgpr31
	s_mov_b32 s2, exec_lo
	s_wait_kmcnt 0x0
	v_or_b32_e32 v2, s25, v4
	s_delay_alu instid0(VALU_DEP_1)
	v_cmpx_ne_u64_e32 0, v[1:2]
	s_wait_alu 0xfffe
	s_xor_b32 s26, exec_lo, s2
	s_cbranch_execz .LBB0_4
; %bb.3:                                ;   in Loop: Header=BB0_2 Depth=1
	s_cvt_f32_u32 s2, s24
	s_cvt_f32_u32 s27, s25
	s_sub_nc_u64 s[30:31], 0, s[24:25]
	s_wait_alu 0xfffe
	s_delay_alu instid0(SALU_CYCLE_1) | instskip(SKIP_1) | instid1(SALU_CYCLE_2)
	s_fmamk_f32 s2, s27, 0x4f800000, s2
	s_wait_alu 0xfffe
	v_s_rcp_f32 s2, s2
	s_delay_alu instid0(TRANS32_DEP_1) | instskip(SKIP_1) | instid1(SALU_CYCLE_2)
	s_mul_f32 s2, s2, 0x5f7ffffc
	s_wait_alu 0xfffe
	s_mul_f32 s27, s2, 0x2f800000
	s_wait_alu 0xfffe
	s_delay_alu instid0(SALU_CYCLE_2) | instskip(SKIP_1) | instid1(SALU_CYCLE_2)
	s_trunc_f32 s27, s27
	s_wait_alu 0xfffe
	s_fmamk_f32 s2, s27, 0xcf800000, s2
	s_cvt_u32_f32 s29, s27
	s_wait_alu 0xfffe
	s_delay_alu instid0(SALU_CYCLE_1) | instskip(SKIP_1) | instid1(SALU_CYCLE_2)
	s_cvt_u32_f32 s28, s2
	s_wait_alu 0xfffe
	s_mul_u64 s[34:35], s[30:31], s[28:29]
	s_wait_alu 0xfffe
	s_mul_hi_u32 s37, s28, s35
	s_mul_i32 s36, s28, s35
	s_mul_hi_u32 s2, s28, s34
	s_mul_i32 s33, s29, s34
	s_wait_alu 0xfffe
	s_add_nc_u64 s[36:37], s[2:3], s[36:37]
	s_mul_hi_u32 s27, s29, s34
	s_mul_hi_u32 s38, s29, s35
	s_add_co_u32 s2, s36, s33
	s_wait_alu 0xfffe
	s_add_co_ci_u32 s2, s37, s27
	s_mul_i32 s34, s29, s35
	s_add_co_ci_u32 s35, s38, 0
	s_wait_alu 0xfffe
	s_add_nc_u64 s[34:35], s[2:3], s[34:35]
	s_wait_alu 0xfffe
	v_add_co_u32 v2, s2, s28, s34
	s_delay_alu instid0(VALU_DEP_1) | instskip(SKIP_1) | instid1(VALU_DEP_1)
	s_cmp_lg_u32 s2, 0
	s_add_co_ci_u32 s29, s29, s35
	v_readfirstlane_b32 s28, v2
	s_wait_alu 0xfffe
	s_delay_alu instid0(VALU_DEP_1)
	s_mul_u64 s[30:31], s[30:31], s[28:29]
	s_wait_alu 0xfffe
	s_mul_hi_u32 s35, s28, s31
	s_mul_i32 s34, s28, s31
	s_mul_hi_u32 s2, s28, s30
	s_mul_i32 s33, s29, s30
	s_wait_alu 0xfffe
	s_add_nc_u64 s[34:35], s[2:3], s[34:35]
	s_mul_hi_u32 s27, s29, s30
	s_mul_hi_u32 s28, s29, s31
	s_wait_alu 0xfffe
	s_add_co_u32 s2, s34, s33
	s_add_co_ci_u32 s2, s35, s27
	s_mul_i32 s30, s29, s31
	s_add_co_ci_u32 s31, s28, 0
	s_wait_alu 0xfffe
	s_add_nc_u64 s[30:31], s[2:3], s[30:31]
	s_wait_alu 0xfffe
	v_add_co_u32 v2, s2, v2, s30
	s_delay_alu instid0(VALU_DEP_1) | instskip(SKIP_1) | instid1(VALU_DEP_1)
	s_cmp_lg_u32 s2, 0
	s_add_co_ci_u32 s2, s29, s31
	v_mul_hi_u32 v11, v3, v2
	s_wait_alu 0xfffe
	v_mad_co_u64_u32 v[5:6], null, v3, s2, 0
	v_mad_co_u64_u32 v[7:8], null, v4, v2, 0
	;; [unrolled: 1-line block ×3, first 2 shown]
	s_delay_alu instid0(VALU_DEP_3) | instskip(SKIP_1) | instid1(VALU_DEP_4)
	v_add_co_u32 v2, vcc_lo, v11, v5
	s_wait_alu 0xfffd
	v_add_co_ci_u32_e32 v5, vcc_lo, 0, v6, vcc_lo
	s_delay_alu instid0(VALU_DEP_2) | instskip(SKIP_1) | instid1(VALU_DEP_2)
	v_add_co_u32 v2, vcc_lo, v2, v7
	s_wait_alu 0xfffd
	v_add_co_ci_u32_e32 v2, vcc_lo, v5, v8, vcc_lo
	s_wait_alu 0xfffd
	v_add_co_ci_u32_e32 v5, vcc_lo, 0, v10, vcc_lo
	s_delay_alu instid0(VALU_DEP_2) | instskip(SKIP_1) | instid1(VALU_DEP_2)
	v_add_co_u32 v2, vcc_lo, v2, v9
	s_wait_alu 0xfffd
	v_add_co_ci_u32_e32 v7, vcc_lo, 0, v5, vcc_lo
	s_delay_alu instid0(VALU_DEP_2) | instskip(SKIP_1) | instid1(VALU_DEP_3)
	v_mul_lo_u32 v8, s25, v2
	v_mad_co_u64_u32 v[5:6], null, s24, v2, 0
	v_mul_lo_u32 v9, s24, v7
	s_delay_alu instid0(VALU_DEP_2) | instskip(NEXT) | instid1(VALU_DEP_2)
	v_sub_co_u32 v5, vcc_lo, v3, v5
	v_add3_u32 v6, v6, v9, v8
	s_delay_alu instid0(VALU_DEP_1) | instskip(SKIP_1) | instid1(VALU_DEP_1)
	v_sub_nc_u32_e32 v8, v4, v6
	s_wait_alu 0xfffd
	v_subrev_co_ci_u32_e64 v8, s2, s25, v8, vcc_lo
	v_add_co_u32 v9, s2, v2, 2
	s_wait_alu 0xf1ff
	v_add_co_ci_u32_e64 v10, s2, 0, v7, s2
	v_sub_co_u32 v11, s2, v5, s24
	v_sub_co_ci_u32_e32 v6, vcc_lo, v4, v6, vcc_lo
	s_wait_alu 0xf1ff
	v_subrev_co_ci_u32_e64 v8, s2, 0, v8, s2
	s_delay_alu instid0(VALU_DEP_3) | instskip(NEXT) | instid1(VALU_DEP_3)
	v_cmp_le_u32_e32 vcc_lo, s24, v11
	v_cmp_eq_u32_e64 s2, s25, v6
	s_wait_alu 0xfffd
	v_cndmask_b32_e64 v11, 0, -1, vcc_lo
	v_cmp_le_u32_e32 vcc_lo, s25, v8
	s_wait_alu 0xfffd
	v_cndmask_b32_e64 v12, 0, -1, vcc_lo
	v_cmp_le_u32_e32 vcc_lo, s24, v5
	;; [unrolled: 3-line block ×3, first 2 shown]
	s_wait_alu 0xfffd
	v_cndmask_b32_e64 v13, 0, -1, vcc_lo
	v_cmp_eq_u32_e32 vcc_lo, s25, v8
	s_wait_alu 0xf1ff
	s_delay_alu instid0(VALU_DEP_2)
	v_cndmask_b32_e64 v5, v13, v5, s2
	s_wait_alu 0xfffd
	v_cndmask_b32_e32 v8, v12, v11, vcc_lo
	v_add_co_u32 v11, vcc_lo, v2, 1
	s_wait_alu 0xfffd
	v_add_co_ci_u32_e32 v12, vcc_lo, 0, v7, vcc_lo
	s_delay_alu instid0(VALU_DEP_3) | instskip(SKIP_1) | instid1(VALU_DEP_2)
	v_cmp_ne_u32_e32 vcc_lo, 0, v8
	s_wait_alu 0xfffd
	v_cndmask_b32_e32 v6, v12, v10, vcc_lo
	v_cndmask_b32_e32 v8, v11, v9, vcc_lo
	v_cmp_ne_u32_e32 vcc_lo, 0, v5
	s_wait_alu 0xfffd
	s_delay_alu instid0(VALU_DEP_2)
	v_dual_cndmask_b32 v31, v7, v6 :: v_dual_cndmask_b32 v30, v2, v8
.LBB0_4:                                ;   in Loop: Header=BB0_2 Depth=1
	s_wait_alu 0xfffe
	s_and_not1_saveexec_b32 s2, s26
	s_cbranch_execz .LBB0_6
; %bb.5:                                ;   in Loop: Header=BB0_2 Depth=1
	v_cvt_f32_u32_e32 v2, s24
	s_sub_co_i32 s26, 0, s24
	v_mov_b32_e32 v31, v1
	s_delay_alu instid0(VALU_DEP_2) | instskip(NEXT) | instid1(TRANS32_DEP_1)
	v_rcp_iflag_f32_e32 v2, v2
	v_mul_f32_e32 v2, 0x4f7ffffe, v2
	s_delay_alu instid0(VALU_DEP_1) | instskip(SKIP_1) | instid1(VALU_DEP_1)
	v_cvt_u32_f32_e32 v2, v2
	s_wait_alu 0xfffe
	v_mul_lo_u32 v5, s26, v2
	s_delay_alu instid0(VALU_DEP_1) | instskip(NEXT) | instid1(VALU_DEP_1)
	v_mul_hi_u32 v5, v2, v5
	v_add_nc_u32_e32 v2, v2, v5
	s_delay_alu instid0(VALU_DEP_1) | instskip(NEXT) | instid1(VALU_DEP_1)
	v_mul_hi_u32 v2, v3, v2
	v_mul_lo_u32 v5, v2, s24
	v_add_nc_u32_e32 v6, 1, v2
	s_delay_alu instid0(VALU_DEP_2) | instskip(NEXT) | instid1(VALU_DEP_1)
	v_sub_nc_u32_e32 v5, v3, v5
	v_subrev_nc_u32_e32 v7, s24, v5
	v_cmp_le_u32_e32 vcc_lo, s24, v5
	s_wait_alu 0xfffd
	s_delay_alu instid0(VALU_DEP_2) | instskip(NEXT) | instid1(VALU_DEP_1)
	v_dual_cndmask_b32 v5, v5, v7 :: v_dual_cndmask_b32 v2, v2, v6
	v_cmp_le_u32_e32 vcc_lo, s24, v5
	s_delay_alu instid0(VALU_DEP_2) | instskip(SKIP_1) | instid1(VALU_DEP_1)
	v_add_nc_u32_e32 v6, 1, v2
	s_wait_alu 0xfffd
	v_cndmask_b32_e32 v30, v2, v6, vcc_lo
.LBB0_6:                                ;   in Loop: Header=BB0_2 Depth=1
	s_wait_alu 0xfffe
	s_or_b32 exec_lo, exec_lo, s2
	v_mul_lo_u32 v2, v31, s24
	s_delay_alu instid0(VALU_DEP_2)
	v_mul_lo_u32 v7, v30, s25
	s_load_b64 s[26:27], s[18:19], 0x0
	v_mad_co_u64_u32 v[5:6], null, v30, s24, 0
	s_load_b64 s[24:25], s[16:17], 0x0
	s_add_nc_u64 s[20:21], s[20:21], 1
	s_add_nc_u64 s[16:17], s[16:17], 8
	s_wait_alu 0xfffe
	v_cmp_ge_u64_e64 s2, s[20:21], s[10:11]
	s_add_nc_u64 s[18:19], s[18:19], 8
	s_add_nc_u64 s[22:23], s[22:23], 8
	v_add3_u32 v2, v6, v7, v2
	v_sub_co_u32 v3, vcc_lo, v3, v5
	s_wait_alu 0xfffd
	s_delay_alu instid0(VALU_DEP_2) | instskip(SKIP_2) | instid1(VALU_DEP_1)
	v_sub_co_ci_u32_e32 v2, vcc_lo, v4, v2, vcc_lo
	s_and_b32 vcc_lo, exec_lo, s2
	s_wait_kmcnt 0x0
	v_mul_lo_u32 v4, s26, v2
	v_mul_lo_u32 v5, s27, v3
	v_mad_co_u64_u32 v[56:57], null, s26, v3, v[56:57]
	v_mul_lo_u32 v2, s24, v2
	v_mul_lo_u32 v6, s25, v3
	v_mad_co_u64_u32 v[28:29], null, s24, v3, v[28:29]
	s_delay_alu instid0(VALU_DEP_4) | instskip(NEXT) | instid1(VALU_DEP_2)
	v_add3_u32 v57, v5, v57, v4
	v_add3_u32 v29, v6, v29, v2
	s_wait_alu 0xfffe
	s_cbranch_vccnz .LBB0_9
; %bb.7:                                ;   in Loop: Header=BB0_2 Depth=1
	v_dual_mov_b32 v3, v30 :: v_dual_mov_b32 v4, v31
	s_branch .LBB0_2
.LBB0_8:
	v_dual_mov_b32 v28, v56 :: v_dual_mov_b32 v29, v57
	v_dual_mov_b32 v31, v4 :: v_dual_mov_b32 v30, v3
.LBB0_9:
	s_load_b64 s[0:1], s[0:1], 0x28
	v_mul_hi_u32 v2, 0x3f03f04, v0
	s_lshl_b64 s[10:11], s[10:11], 3
                                        ; implicit-def: $vgpr68
	s_wait_alu 0xfffe
	s_add_nc_u64 s[2:3], s[14:15], s[10:11]
                                        ; implicit-def: $sgpr14
	s_wait_kmcnt 0x0
	v_cmp_gt_u64_e32 vcc_lo, s[0:1], v[30:31]
	v_cmp_le_u64_e64 s0, s[0:1], v[30:31]
	s_delay_alu instid0(VALU_DEP_1)
	s_and_saveexec_b32 s1, s0
	s_wait_alu 0xfffe
	s_xor_b32 s0, exec_lo, s1
; %bb.10:
	v_mul_u32_u24_e32 v1, 0x41, v2
	s_mov_b32 s14, 0
                                        ; implicit-def: $vgpr2
                                        ; implicit-def: $vgpr56_vgpr57
	s_delay_alu instid0(VALU_DEP_1)
	v_sub_nc_u32_e32 v68, v0, v1
                                        ; implicit-def: $vgpr0
; %bb.11:
	s_wait_alu 0xfffe
	s_or_saveexec_b32 s1, s0
	s_load_b64 s[2:3], s[2:3], 0x0
	v_dual_mov_b32 v9, s14 :: v_dual_mov_b32 v8, s14
                                        ; implicit-def: $vgpr45
                                        ; implicit-def: $vgpr55
                                        ; implicit-def: $vgpr53
                                        ; implicit-def: $vgpr43
                                        ; implicit-def: $vgpr39
                                        ; implicit-def: $vgpr35
                                        ; implicit-def: $vgpr27
                                        ; implicit-def: $vgpr25
                                        ; implicit-def: $vgpr23
                                        ; implicit-def: $vgpr15
                                        ; implicit-def: $vgpr11
                                        ; implicit-def: $vgpr5
                                        ; implicit-def: $vgpr1
                                        ; implicit-def: $vgpr19
                                        ; implicit-def: $vgpr21
                                        ; implicit-def: $vgpr17
                                        ; implicit-def: $vgpr13
                                        ; implicit-def: $vgpr7
                                        ; implicit-def: $vgpr3
                                        ; implicit-def: $vgpr49
                                        ; implicit-def: $vgpr51
                                        ; implicit-def: $vgpr47
                                        ; implicit-def: $vgpr41
                                        ; implicit-def: $vgpr37
                                        ; implicit-def: $vgpr33
	s_xor_b32 exec_lo, exec_lo, s1
	s_cbranch_execz .LBB0_15
; %bb.12:
	s_add_nc_u64 s[10:11], s[12:13], s[10:11]
	v_mov_b32_e32 v8, 0
	s_load_b64 s[10:11], s[10:11], 0x0
                                        ; implicit-def: $vgpr6
                                        ; implicit-def: $vgpr12
                                        ; implicit-def: $vgpr16
                                        ; implicit-def: $vgpr20
                                        ; implicit-def: $vgpr18
                                        ; implicit-def: $vgpr10
                                        ; implicit-def: $vgpr14
                                        ; implicit-def: $vgpr22
                                        ; implicit-def: $vgpr24
	v_mov_b32_e32 v9, 0
	s_wait_kmcnt 0x0
	v_mul_lo_u32 v1, s11, v30
	v_mul_lo_u32 v5, s10, v31
	v_mad_co_u64_u32 v[3:4], null, s10, v30, 0
	s_delay_alu instid0(VALU_DEP_1) | instskip(SKIP_1) | instid1(VALU_DEP_2)
	v_add3_u32 v4, v4, v5, v1
	v_mul_u32_u24_e32 v5, 0x41, v2
	v_lshlrev_b64_e32 v[1:2], 3, v[3:4]
	v_lshlrev_b64_e32 v[3:4], 3, v[56:57]
	s_delay_alu instid0(VALU_DEP_3) | instskip(NEXT) | instid1(VALU_DEP_3)
	v_sub_nc_u32_e32 v68, v0, v5
	v_add_co_u32 v0, s0, s4, v1
	s_wait_alu 0xf1ff
	s_delay_alu instid0(VALU_DEP_4) | instskip(NEXT) | instid1(VALU_DEP_3)
	v_add_co_ci_u32_e64 v1, s0, s5, v2, s0
	v_lshlrev_b32_e32 v2, 3, v68
	s_delay_alu instid0(VALU_DEP_3) | instskip(SKIP_1) | instid1(VALU_DEP_3)
	v_add_co_u32 v0, s0, v0, v3
	s_wait_alu 0xf1ff
	v_add_co_ci_u32_e64 v1, s0, v1, v4, s0
	s_mov_b32 s4, exec_lo
	s_delay_alu instid0(VALU_DEP_2) | instskip(SKIP_1) | instid1(VALU_DEP_2)
	v_add_co_u32 v56, s0, v0, v2
	s_wait_alu 0xf1ff
	v_add_co_ci_u32_e64 v57, s0, 0, v1, s0
                                        ; implicit-def: $vgpr2
                                        ; implicit-def: $vgpr0
                                        ; implicit-def: $vgpr4
	s_clause 0xc
	global_load_b64 v[44:45], v[56:57], off
	global_load_b64 v[54:55], v[56:57], off offset:1000
	global_load_b64 v[52:53], v[56:57], off offset:2000
	;; [unrolled: 1-line block ×12, first 2 shown]
	v_cmpx_gt_u32_e32 60, v68
; %bb.13:
	s_clause 0xc
	global_load_b64 v[8:9], v[56:57], off offset:520
	global_load_b64 v[24:25], v[56:57], off offset:1520
	;; [unrolled: 1-line block ×13, first 2 shown]
; %bb.14:
	s_wait_alu 0xfffe
	s_or_b32 exec_lo, exec_lo, s4
.LBB0_15:
	s_delay_alu instid0(SALU_CYCLE_1) | instskip(SKIP_4) | instid1(VALU_DEP_3)
	s_or_b32 exec_lo, exec_lo, s1
	s_wait_loadcnt 0x0
	v_dual_add_f32 v56, v44, v54 :: v_dual_sub_f32 v59, v55, v49
	v_dual_add_f32 v60, v50, v52 :: v_dual_and_b32 v57, 1, v58
	v_add_f32_e32 v58, v48, v54
	v_dual_add_f32 v61, v56, v52 :: v_dual_sub_f32 v62, v53, v51
	s_delay_alu instid0(VALU_DEP_3) | instskip(NEXT) | instid1(VALU_DEP_4)
	v_cmp_eq_u32_e64 s0, 1, v57
	v_mul_f32_e32 v67, 0x3f116cb1, v60
	s_delay_alu instid0(VALU_DEP_4) | instskip(NEXT) | instid1(VALU_DEP_4)
	v_mul_f32_e32 v65, 0xbeb58ec6, v58
	v_dual_add_f32 v61, v61, v42 :: v_dual_mul_f32 v70, 0xbf788fa5, v60
	s_wait_alu 0xf1ff
	v_cndmask_b32_e64 v56, 0, 0x659, s0
	v_cmp_gt_u32_e64 s0, 60, v68
	s_delay_alu instid0(VALU_DEP_3) | instskip(NEXT) | instid1(VALU_DEP_1)
	v_dual_fmamk_f32 v74, v59, 0x3f6f5d39, v65 :: v_dual_add_f32 v61, v61, v38
	v_dual_add_f32 v74, v74, v44 :: v_dual_add_f32 v61, v61, v34
	s_delay_alu instid0(VALU_DEP_1) | instskip(NEXT) | instid1(VALU_DEP_1)
	v_add_f32_e32 v61, v61, v26
	v_dual_mul_f32 v64, 0x3df6dbef, v58 :: v_dual_add_f32 v61, v61, v32
	v_mul_f32_e32 v66, 0xbf3f9e67, v58
	s_delay_alu instid0(VALU_DEP_2) | instskip(SKIP_2) | instid1(VALU_DEP_4)
	v_fmamk_f32 v73, v59, 0x3f7e222b, v64
	v_fmac_f32_e32 v64, 0xbf7e222b, v59
	v_mul_f32_e32 v63, 0x3f116cb1, v58
	v_fmamk_f32 v75, v59, 0x3f29c268, v66
	v_fmac_f32_e32 v66, 0xbf29c268, v59
	s_delay_alu instid0(VALU_DEP_4) | instskip(NEXT) | instid1(VALU_DEP_4)
	v_add_f32_e32 v64, v64, v44
	v_fmamk_f32 v72, v59, 0x3f52af12, v63
	v_mul_f32_e32 v57, 0x3f62ad3f, v58
	v_add_f32_e32 v75, v75, v44
	v_dual_add_f32 v66, v66, v44 :: v_dual_fmac_f32 v65, 0xbf6f5d39, v59
	s_delay_alu instid0(VALU_DEP_3) | instskip(SKIP_1) | instid1(VALU_DEP_3)
	v_dual_add_f32 v72, v72, v44 :: v_dual_fmamk_f32 v71, v59, 0x3eedf032, v57
	v_dual_mul_f32 v58, 0xbf788fa5, v58 :: v_dual_add_f32 v73, v73, v44
	v_add_f32_e32 v65, v65, v44
	s_delay_alu instid0(VALU_DEP_3) | instskip(NEXT) | instid1(VALU_DEP_3)
	v_add_f32_e32 v71, v71, v44
	v_fmamk_f32 v76, v59, 0x3e750f2a, v58
	v_fmac_f32_e32 v57, 0xbeedf032, v59
	v_fmac_f32_e32 v58, 0xbe750f2a, v59
	;; [unrolled: 1-line block ×3, first 2 shown]
	v_add_f32_e32 v59, v36, v61
	s_delay_alu instid0(VALU_DEP_2) | instskip(NEXT) | instid1(VALU_DEP_2)
	v_add_f32_e32 v63, v63, v44
	v_add_f32_e32 v59, v40, v59
	;; [unrolled: 1-line block ×5, first 2 shown]
	v_fmamk_f32 v61, v62, 0x3f52af12, v67
	v_mul_f32_e32 v69, 0xbeb58ec6, v60
	s_delay_alu instid0(VALU_DEP_2) | instskip(NEXT) | instid1(VALU_DEP_2)
	v_dual_add_f32 v59, v46, v59 :: v_dual_add_f32 v58, v71, v61
	v_fmamk_f32 v77, v62, 0x3f6f5d39, v69
	v_fmac_f32_e32 v69, 0xbf6f5d39, v62
	v_mul_f32_e32 v61, 0xbf3f9e67, v60
	v_fmamk_f32 v71, v62, 0x3e750f2a, v70
	s_delay_alu instid0(VALU_DEP_1) | instskip(SKIP_2) | instid1(VALU_DEP_3)
	v_dual_fmac_f32 v70, 0xbe750f2a, v62 :: v_dual_add_f32 v71, v73, v71
	v_sub_f32_e32 v73, v43, v47
	v_add_f32_e32 v63, v63, v69
	v_dual_fmamk_f32 v69, v62, 0xbf29c268, v61 :: v_dual_add_f32 v64, v64, v70
	s_delay_alu instid0(VALU_DEP_1) | instskip(SKIP_1) | instid1(VALU_DEP_1)
	v_add_f32_e32 v69, v74, v69
	v_fmac_f32_e32 v67, 0xbf52af12, v62
	v_add_f32_e32 v57, v57, v67
	v_dual_add_f32 v67, v72, v77 :: v_dual_mul_f32 v72, 0x3df6dbef, v60
	v_dual_add_f32 v59, v50, v59 :: v_dual_mul_f32 v60, 0x3f62ad3f, v60
	s_delay_alu instid0(VALU_DEP_2) | instskip(SKIP_1) | instid1(VALU_DEP_2)
	v_fmamk_f32 v70, v62, 0xbf7e222b, v72
	v_fmac_f32_e32 v72, 0x3f7e222b, v62
	v_add_f32_e32 v70, v75, v70
	v_fmac_f32_e32 v61, 0x3f29c268, v62
	v_fmamk_f32 v75, v62, 0xbeedf032, v60
	v_fmac_f32_e32 v60, 0x3eedf032, v62
	s_delay_alu instid0(VALU_DEP_3) | instskip(SKIP_2) | instid1(VALU_DEP_4)
	v_dual_add_f32 v62, v66, v72 :: v_dual_add_f32 v61, v65, v61
	v_add_f32_e32 v65, v46, v42
	v_add_f32_e32 v59, v48, v59
	;; [unrolled: 1-line block ×3, first 2 shown]
	s_delay_alu instid0(VALU_DEP_3) | instskip(NEXT) | instid1(VALU_DEP_1)
	v_mul_f32_e32 v74, 0x3df6dbef, v65
	v_fmamk_f32 v66, v73, 0x3f7e222b, v74
	v_fmac_f32_e32 v74, 0xbf7e222b, v73
	v_mul_f32_e32 v72, 0xbf788fa5, v65
	s_delay_alu instid0(VALU_DEP_3) | instskip(SKIP_1) | instid1(VALU_DEP_3)
	v_add_f32_e32 v58, v58, v66
	v_mul_f32_e32 v66, 0xbeb58ec6, v65
	v_fmamk_f32 v60, v73, 0x3e750f2a, v72
	v_dual_fmac_f32 v72, 0xbe750f2a, v73 :: v_dual_add_f32 v57, v57, v74
	v_mul_f32_e32 v74, 0x3f62ad3f, v65
	s_delay_alu instid0(VALU_DEP_3) | instskip(NEXT) | instid1(VALU_DEP_3)
	v_add_f32_e32 v60, v67, v60
	v_add_f32_e32 v63, v63, v72
	v_fmamk_f32 v67, v73, 0xbf6f5d39, v66
	v_fmac_f32_e32 v66, 0x3f6f5d39, v73
	v_fmamk_f32 v72, v73, 0xbeedf032, v74
	s_delay_alu instid0(VALU_DEP_3) | instskip(NEXT) | instid1(VALU_DEP_3)
	v_dual_fmac_f32 v74, 0x3eedf032, v73 :: v_dual_add_f32 v67, v71, v67
	v_dual_mul_f32 v71, 0x3f116cb1, v65 :: v_dual_add_f32 v64, v64, v66
	s_delay_alu instid0(VALU_DEP_3) | instskip(SKIP_1) | instid1(VALU_DEP_3)
	v_dual_add_f32 v66, v69, v72 :: v_dual_add_f32 v69, v40, v38
	v_mul_f32_e32 v65, 0xbf3f9e67, v65
	v_fmamk_f32 v72, v73, 0x3f52af12, v71
	s_delay_alu instid0(VALU_DEP_1) | instskip(NEXT) | instid1(VALU_DEP_3)
	v_dual_fmac_f32 v71, 0xbf52af12, v73 :: v_dual_add_f32 v70, v70, v72
	v_fmamk_f32 v72, v73, 0x3f29c268, v65
	s_delay_alu instid0(VALU_DEP_2) | instskip(SKIP_2) | instid1(VALU_DEP_3)
	v_dual_fmac_f32 v65, 0xbf29c268, v73 :: v_dual_add_f32 v62, v62, v71
	v_dual_add_f32 v61, v61, v74 :: v_dual_sub_f32 v74, v39, v41
	v_mul_f32_e32 v73, 0xbf3f9e67, v69
	v_add_f32_e32 v44, v44, v65
	v_dual_add_f32 v75, v76, v75 :: v_dual_mul_f32 v76, 0xbeb58ec6, v69
	s_delay_alu instid0(VALU_DEP_3) | instskip(NEXT) | instid1(VALU_DEP_1)
	v_fmamk_f32 v65, v74, 0xbf29c268, v73
	v_dual_fmamk_f32 v71, v74, 0x3f6f5d39, v76 :: v_dual_add_f32 v60, v60, v65
	s_delay_alu instid0(VALU_DEP_1) | instskip(NEXT) | instid1(VALU_DEP_1)
	v_dual_add_f32 v58, v58, v71 :: v_dual_mul_f32 v71, 0x3f62ad3f, v69
	v_fmamk_f32 v65, v74, 0xbeedf032, v71
	v_fmac_f32_e32 v71, 0x3eedf032, v74
	s_delay_alu instid0(VALU_DEP_2) | instskip(NEXT) | instid1(VALU_DEP_2)
	v_dual_fmac_f32 v76, 0xbf6f5d39, v74 :: v_dual_add_f32 v65, v67, v65
	v_add_f32_e32 v64, v64, v71
	v_add_f32_e32 v71, v36, v34
	s_delay_alu instid0(VALU_DEP_1) | instskip(SKIP_1) | instid1(VALU_DEP_1)
	v_dual_add_f32 v57, v57, v76 :: v_dual_mul_f32 v76, 0xbf3f9e67, v71
	v_fmac_f32_e32 v73, 0x3f29c268, v74
	v_add_f32_e32 v63, v63, v73
	v_dual_add_f32 v72, v75, v72 :: v_dual_mul_f32 v75, 0x3df6dbef, v69
	s_delay_alu instid0(VALU_DEP_1) | instskip(NEXT) | instid1(VALU_DEP_1)
	v_fmamk_f32 v73, v74, 0x3f7e222b, v75
	v_dual_fmac_f32 v75, 0xbf7e222b, v74 :: v_dual_add_f32 v66, v66, v73
	v_mul_f32_e32 v67, 0xbf788fa5, v69
	s_delay_alu instid0(VALU_DEP_1) | instskip(NEXT) | instid1(VALU_DEP_1)
	v_fmamk_f32 v73, v74, 0xbe750f2a, v67
	v_dual_add_f32 v70, v70, v73 :: v_dual_fmac_f32 v67, 0x3e750f2a, v74
	s_delay_alu instid0(VALU_DEP_1) | instskip(NEXT) | instid1(VALU_DEP_1)
	v_dual_add_f32 v62, v62, v67 :: v_dual_mul_f32 v69, 0x3f116cb1, v69
	v_fmamk_f32 v73, v74, 0xbf52af12, v69
	v_fmac_f32_e32 v69, 0x3f52af12, v74
	v_mul_f32_e32 v74, 0x3df6dbef, v71
	s_delay_alu instid0(VALU_DEP_3) | instskip(NEXT) | instid1(VALU_DEP_3)
	v_add_f32_e32 v72, v72, v73
	v_dual_add_f32 v44, v44, v69 :: v_dual_mul_f32 v73, 0xbf788fa5, v71
	v_add_f32_e32 v61, v61, v75
	v_sub_f32_e32 v75, v35, v37
	v_mul_f32_e32 v69, 0x3f116cb1, v71
	s_delay_alu instid0(VALU_DEP_2) | instskip(SKIP_1) | instid1(VALU_DEP_2)
	v_fmamk_f32 v67, v75, 0x3f29c268, v76
	v_fmac_f32_e32 v76, 0xbf29c268, v75
	v_dual_add_f32 v58, v58, v67 :: v_dual_fmamk_f32 v67, v75, 0xbf7e222b, v74
	s_delay_alu instid0(VALU_DEP_1) | instskip(SKIP_2) | instid1(VALU_DEP_1)
	v_dual_add_f32 v57, v57, v76 :: v_dual_add_f32 v60, v60, v67
	v_fmamk_f32 v67, v75, 0x3f52af12, v69
	v_fmac_f32_e32 v69, 0xbf52af12, v75
	v_dual_add_f32 v65, v65, v67 :: v_dual_add_f32 v64, v64, v69
	v_add_f32_e32 v69, v32, v26
	s_delay_alu instid0(VALU_DEP_1) | instskip(SKIP_2) | instid1(VALU_DEP_1)
	v_mul_f32_e32 v76, 0xbf788fa5, v69
	v_mul_f32_e32 v67, 0x3f62ad3f, v71
	;; [unrolled: 1-line block ×3, first 2 shown]
	v_fmamk_f32 v77, v75, 0x3f6f5d39, v71
	s_delay_alu instid0(VALU_DEP_1) | instskip(NEXT) | instid1(VALU_DEP_1)
	v_dual_fmac_f32 v71, 0xbf6f5d39, v75 :: v_dual_add_f32 v72, v72, v77
	v_add_f32_e32 v44, v44, v71
	v_fmac_f32_e32 v74, 0x3f7e222b, v75
	s_delay_alu instid0(VALU_DEP_1) | instskip(SKIP_1) | instid1(VALU_DEP_1)
	v_add_f32_e32 v63, v63, v74
	v_fmamk_f32 v74, v75, 0xbe750f2a, v73
	v_dual_fmac_f32 v73, 0x3e750f2a, v75 :: v_dual_add_f32 v66, v66, v74
	s_delay_alu instid0(VALU_DEP_1) | instskip(SKIP_2) | instid1(VALU_DEP_2)
	v_add_f32_e32 v61, v61, v73
	v_fmamk_f32 v73, v75, 0xbeedf032, v67
	v_dual_fmac_f32 v67, 0x3eedf032, v75 :: v_dual_sub_f32 v74, v27, v33
	v_add_f32_e32 v70, v70, v73
	s_delay_alu instid0(VALU_DEP_2) | instskip(NEXT) | instid1(VALU_DEP_3)
	v_add_f32_e32 v62, v62, v67
	v_fmamk_f32 v67, v74, 0x3e750f2a, v76
	v_mul_f32_e32 v73, 0x3f62ad3f, v69
	v_fmac_f32_e32 v76, 0xbe750f2a, v74
	s_delay_alu instid0(VALU_DEP_3) | instskip(NEXT) | instid1(VALU_DEP_3)
	v_dual_add_f32 v58, v58, v67 :: v_dual_mul_f32 v67, 0xbf3f9e67, v69
	v_fmamk_f32 v71, v74, 0xbeedf032, v73
	v_fmac_f32_e32 v73, 0x3eedf032, v74
	s_delay_alu instid0(VALU_DEP_4) | instskip(SKIP_4) | instid1(VALU_DEP_4)
	v_add_f32_e32 v75, v57, v76
	v_mul_f32_e32 v57, 0x3f116cb1, v69
	v_fmamk_f32 v76, v74, 0x3f29c268, v67
	v_dual_fmac_f32 v67, 0xbf29c268, v74 :: v_dual_add_f32 v60, v60, v71
	v_add_f32_e32 v63, v63, v73
	v_fmamk_f32 v71, v74, 0xbf52af12, v57
	v_fmac_f32_e32 v57, 0x3f52af12, v74
	s_delay_alu instid0(VALU_DEP_4) | instskip(SKIP_2) | instid1(VALU_DEP_4)
	v_dual_mul_f32 v73, 0xbeb58ec6, v69 :: v_dual_add_f32 v64, v64, v67
	v_mul_f32_e32 v67, 0x3df6dbef, v69
	v_mad_u32_u24 v69, v68, 52, 0
	v_add_f32_e32 v61, v61, v57
	s_delay_alu instid0(VALU_DEP_4) | instskip(SKIP_3) | instid1(VALU_DEP_4)
	v_fmamk_f32 v57, v74, 0x3f6f5d39, v73
	v_add_f32_e32 v66, v66, v71
	v_fmamk_f32 v71, v74, 0xbf7e222b, v67
	v_fmac_f32_e32 v67, 0x3f7e222b, v74
	v_dual_fmac_f32 v73, 0xbf6f5d39, v74 :: v_dual_add_f32 v70, v70, v57
	v_lshl_add_u32 v57, v56, 2, v69
	s_delay_alu instid0(VALU_DEP_3) | instskip(NEXT) | instid1(VALU_DEP_3)
	v_dual_add_f32 v65, v65, v76 :: v_dual_add_f32 v44, v44, v67
	v_dual_add_f32 v69, v72, v71 :: v_dual_add_f32 v62, v62, v73
	ds_store_2addr_b32 v57, v59, v58 offset1:1
	ds_store_2addr_b32 v57, v60, v65 offset0:2 offset1:3
	ds_store_2addr_b32 v57, v66, v70 offset0:4 offset1:5
	;; [unrolled: 1-line block ×5, first 2 shown]
	ds_store_b32 v57, v75 offset:48
	s_and_saveexec_b32 s1, s0
	s_cbranch_execz .LBB0_17
; %bb.16:
	v_dual_sub_f32 v44, v25, v19 :: v_dual_add_f32 v59, v22, v20
	v_dual_add_f32 v58, v24, v18 :: v_dual_add_f32 v61, v14, v16
	v_dual_add_f32 v64, v10, v12 :: v_dual_sub_f32 v65, v11, v13
	s_delay_alu instid0(VALU_DEP_3) | instskip(SKIP_2) | instid1(VALU_DEP_3)
	v_dual_mul_f32 v62, 0xbe750f2a, v44 :: v_dual_sub_f32 v63, v15, v17
	v_sub_f32_e32 v60, v23, v21
	v_dual_sub_f32 v70, v5, v7 :: v_dual_add_f32 v73, v0, v2
	v_fmamk_f32 v67, v58, 0xbf788fa5, v62
	s_delay_alu instid0(VALU_DEP_3) | instskip(SKIP_2) | instid1(VALU_DEP_4)
	v_dual_add_f32 v69, v4, v6 :: v_dual_mul_f32 v66, 0x3eedf032, v60
	v_fma_f32 v62, 0xbf788fa5, v58, -v62
	v_mul_f32_e32 v71, 0xbf29c268, v63
	v_add_f32_e32 v67, v8, v67
	v_mul_f32_e32 v79, 0xbf52af12, v63
	v_fmamk_f32 v72, v59, 0x3f62ad3f, v66
	v_mul_f32_e32 v74, 0x3f52af12, v65
	v_fma_f32 v66, 0x3f62ad3f, v59, -v66
	v_dual_add_f32 v62, v8, v62 :: v_dual_fmamk_f32 v75, v61, 0xbf3f9e67, v71
	s_delay_alu instid0(VALU_DEP_3) | instskip(SKIP_1) | instid1(VALU_DEP_3)
	v_dual_add_f32 v67, v67, v72 :: v_dual_fmamk_f32 v76, v64, 0x3f116cb1, v74
	v_fma_f32 v71, 0xbf3f9e67, v61, -v71
	v_add_f32_e32 v62, v62, v66
	s_delay_alu instid0(VALU_DEP_3) | instskip(SKIP_2) | instid1(VALU_DEP_3)
	v_dual_mul_f32 v72, 0xbf6f5d39, v70 :: v_dual_add_f32 v67, v67, v75
	v_sub_f32_e32 v75, v1, v3
	v_fma_f32 v74, 0x3f116cb1, v64, -v74
	v_dual_add_f32 v62, v62, v71 :: v_dual_fmamk_f32 v77, v69, 0xbeb58ec6, v72
	s_delay_alu instid0(VALU_DEP_4) | instskip(SKIP_2) | instid1(VALU_DEP_4)
	v_add_f32_e32 v66, v67, v76
	v_mul_f32_e32 v67, 0xbf29c268, v44
	v_mul_f32_e32 v76, 0x3f7e222b, v75
	v_add_f32_e32 v62, v62, v74
	v_fma_f32 v72, 0xbeb58ec6, v69, -v72
	v_mul_f32_e32 v83, 0x3f6f5d39, v63
	v_fmamk_f32 v71, v58, 0xbf3f9e67, v67
	v_dual_add_f32 v66, v66, v77 :: v_dual_mul_f32 v77, 0x3f7e222b, v60
	v_fma_f32 v67, 0xbf3f9e67, v58, -v67
	v_mul_f32_e32 v85, 0xbe750f2a, v63
	s_delay_alu instid0(VALU_DEP_3) | instskip(NEXT) | instid1(VALU_DEP_3)
	v_dual_add_f32 v71, v8, v71 :: v_dual_fmamk_f32 v74, v59, 0x3df6dbef, v77
	v_dual_add_f32 v67, v8, v67 :: v_dual_fmamk_f32 v78, v73, 0x3df6dbef, v76
	v_fma_f32 v76, 0x3df6dbef, v73, -v76
	v_fma_f32 v77, 0x3df6dbef, v59, -v77
	s_delay_alu instid0(VALU_DEP_4) | instskip(NEXT) | instid1(VALU_DEP_1)
	v_dual_add_f32 v71, v71, v74 :: v_dual_add_f32 v62, v62, v72
	v_dual_add_f32 v67, v67, v77 :: v_dual_add_f32 v62, v62, v76
	v_fma_f32 v76, 0x3f116cb1, v61, -v79
	v_fmamk_f32 v72, v61, 0x3f116cb1, v79
	v_mul_f32_e32 v79, 0xbf6f5d39, v75
	s_delay_alu instid0(VALU_DEP_3) | instskip(NEXT) | instid1(VALU_DEP_3)
	v_dual_add_f32 v67, v67, v76 :: v_dual_add_f32 v66, v66, v78
	v_dual_add_f32 v71, v71, v72 :: v_dual_mul_f32 v74, 0x3e750f2a, v65
	s_delay_alu instid0(VALU_DEP_3) | instskip(SKIP_2) | instid1(VALU_DEP_4)
	v_fmamk_f32 v80, v73, 0xbeb58ec6, v79
	v_fma_f32 v79, 0xbeb58ec6, v73, -v79
	v_mul_f32_e32 v76, 0x3f29c268, v60
	v_fmamk_f32 v72, v64, 0xbf788fa5, v74
	s_delay_alu instid0(VALU_DEP_1) | instskip(SKIP_1) | instid1(VALU_DEP_1)
	v_dual_add_f32 v71, v71, v72 :: v_dual_mul_f32 v78, 0x3eedf032, v70
	v_fma_f32 v74, 0xbf788fa5, v64, -v74
	v_dual_fmamk_f32 v72, v69, 0x3f62ad3f, v78 :: v_dual_add_f32 v67, v67, v74
	s_delay_alu instid0(VALU_DEP_1) | instskip(SKIP_3) | instid1(VALU_DEP_4)
	v_add_f32_e32 v71, v71, v72
	v_fma_f32 v74, 0x3f62ad3f, v69, -v78
	v_fmamk_f32 v78, v59, 0xbf3f9e67, v76
	v_mul_f32_e32 v77, 0xbf6f5d39, v44
	v_add_f32_e32 v71, v71, v80
	s_delay_alu instid0(VALU_DEP_4) | instskip(SKIP_1) | instid1(VALU_DEP_2)
	v_add_f32_e32 v67, v67, v74
	v_mul_f32_e32 v80, 0x3e750f2a, v70
	v_dual_fmamk_f32 v72, v58, 0xbeb58ec6, v77 :: v_dual_add_f32 v67, v67, v79
	v_fma_f32 v76, 0xbf3f9e67, v59, -v76
	s_delay_alu instid0(VALU_DEP_2) | instskip(NEXT) | instid1(VALU_DEP_1)
	v_add_f32_e32 v72, v8, v72
	v_dual_mul_f32 v79, 0xbf7e222b, v44 :: v_dual_add_f32 v72, v72, v78
	v_fma_f32 v74, 0xbeb58ec6, v58, -v77
	v_mul_f32_e32 v81, 0x3eedf032, v63
	v_dual_mul_f32 v78, 0xbf7e222b, v65 :: v_dual_mul_f32 v63, 0xbf7e222b, v63
	s_delay_alu instid0(VALU_DEP_2) | instskip(NEXT) | instid1(VALU_DEP_1)
	v_dual_add_f32 v74, v8, v74 :: v_dual_fmamk_f32 v77, v61, 0x3f62ad3f, v81
	v_add_f32_e32 v74, v74, v76
	s_delay_alu instid0(VALU_DEP_2) | instskip(SKIP_2) | instid1(VALU_DEP_2)
	v_add_f32_e32 v72, v72, v77
	v_fma_f32 v76, 0x3f62ad3f, v61, -v81
	v_fmamk_f32 v77, v64, 0x3df6dbef, v78
	v_dual_mul_f32 v81, 0x3f52af12, v75 :: v_dual_add_f32 v74, v74, v76
	s_delay_alu instid0(VALU_DEP_2) | instskip(SKIP_2) | instid1(VALU_DEP_4)
	v_dual_add_f32 v72, v72, v77 :: v_dual_fmamk_f32 v77, v69, 0xbf788fa5, v80
	v_fma_f32 v76, 0x3df6dbef, v64, -v78
	v_mul_f32_e32 v78, 0xbe750f2a, v60
	v_fmamk_f32 v82, v73, 0x3f116cb1, v81
	v_fma_f32 v81, 0x3f116cb1, v73, -v81
	v_dual_add_f32 v72, v72, v77 :: v_dual_fmamk_f32 v77, v58, 0x3df6dbef, v79
	v_add_f32_e32 v74, v74, v76
	v_fma_f32 v76, 0xbf788fa5, v69, -v80
	v_fmamk_f32 v80, v59, 0xbf788fa5, v78
	s_delay_alu instid0(VALU_DEP_4) | instskip(SKIP_1) | instid1(VALU_DEP_1)
	v_add_f32_e32 v72, v72, v82
	v_dual_add_f32 v77, v8, v77 :: v_dual_mul_f32 v82, 0xbf52af12, v70
	v_dual_add_f32 v77, v77, v80 :: v_dual_mul_f32 v80, 0x3eedf032, v65
	v_add_f32_e32 v74, v74, v76
	v_fma_f32 v76, 0x3df6dbef, v58, -v79
	v_fmamk_f32 v79, v61, 0xbeb58ec6, v83
	s_delay_alu instid0(VALU_DEP_1) | instskip(NEXT) | instid1(VALU_DEP_4)
	v_add_f32_e32 v77, v77, v79
	v_dual_fmamk_f32 v79, v64, 0x3f62ad3f, v80 :: v_dual_add_f32 v74, v74, v81
	v_mul_f32_e32 v81, 0xbf52af12, v44
	s_delay_alu instid0(VALU_DEP_2) | instskip(SKIP_2) | instid1(VALU_DEP_1)
	v_dual_add_f32 v76, v8, v76 :: v_dual_add_f32 v77, v77, v79
	v_fmamk_f32 v79, v69, 0x3f116cb1, v82
	v_fma_f32 v78, 0xbf788fa5, v59, -v78
	v_dual_add_f32 v77, v77, v79 :: v_dual_add_f32 v76, v76, v78
	v_fmamk_f32 v79, v58, 0x3f116cb1, v81
	v_fma_f32 v78, 0xbeb58ec6, v61, -v83
	v_mul_f32_e32 v83, 0xbf29c268, v75
	v_fma_f32 v81, 0x3f116cb1, v58, -v81
	s_delay_alu instid0(VALU_DEP_4) | instskip(NEXT) | instid1(VALU_DEP_4)
	v_add_f32_e32 v79, v8, v79
	v_add_f32_e32 v76, v76, v78
	s_delay_alu instid0(VALU_DEP_3) | instskip(SKIP_1) | instid1(VALU_DEP_2)
	v_dual_fmamk_f32 v84, v73, 0xbf3f9e67, v83 :: v_dual_add_f32 v81, v8, v81
	v_fma_f32 v83, 0xbf3f9e67, v73, -v83
	v_add_f32_e32 v77, v77, v84
	v_fma_f32 v78, 0x3f62ad3f, v64, -v80
	v_mul_f32_e32 v80, 0xbf6f5d39, v60
	v_mul_f32_e32 v84, 0x3f7e222b, v70
	;; [unrolled: 1-line block ×3, first 2 shown]
	s_delay_alu instid0(VALU_DEP_4) | instskip(SKIP_3) | instid1(VALU_DEP_3)
	v_add_f32_e32 v76, v76, v78
	v_fma_f32 v78, 0x3f116cb1, v69, -v82
	v_fmamk_f32 v82, v59, 0xbeb58ec6, v80
	v_fma_f32 v80, 0xbeb58ec6, v59, -v80
	v_add_f32_e32 v76, v76, v78
	s_delay_alu instid0(VALU_DEP_3) | instskip(NEXT) | instid1(VALU_DEP_3)
	v_dual_add_f32 v78, v79, v82 :: v_dual_fmamk_f32 v79, v61, 0xbf788fa5, v85
	v_add_f32_e32 v80, v81, v80
	v_fma_f32 v81, 0xbf788fa5, v61, -v85
	v_dual_add_f32 v85, v8, v24 :: v_dual_mul_f32 v82, 0x3f29c268, v65
	v_mul_f32_e32 v65, 0xbf6f5d39, v65
	s_delay_alu instid0(VALU_DEP_2) | instskip(NEXT) | instid1(VALU_DEP_3)
	v_dual_add_f32 v80, v80, v81 :: v_dual_add_f32 v81, v85, v22
	v_dual_add_f32 v78, v78, v79 :: v_dual_fmamk_f32 v79, v64, 0xbf3f9e67, v82
	v_fma_f32 v82, 0xbf3f9e67, v64, -v82
	s_delay_alu instid0(VALU_DEP_2) | instskip(NEXT) | instid1(VALU_DEP_1)
	v_dual_add_f32 v81, v81, v14 :: v_dual_add_f32 v78, v78, v79
	v_add_f32_e32 v81, v81, v10
	s_delay_alu instid0(VALU_DEP_1) | instskip(SKIP_2) | instid1(VALU_DEP_2)
	v_dual_add_f32 v80, v80, v82 :: v_dual_add_f32 v81, v81, v4
	v_dual_fmamk_f32 v79, v69, 0x3df6dbef, v84 :: v_dual_add_f32 v76, v76, v83
	v_fma_f32 v82, 0x3df6dbef, v69, -v84
	v_add_f32_e32 v78, v78, v79
	s_delay_alu instid0(VALU_DEP_2) | instskip(SKIP_1) | instid1(VALU_DEP_2)
	v_dual_mul_f32 v79, 0x3eedf032, v75 :: v_dual_add_f32 v80, v80, v82
	v_fmamk_f32 v82, v59, 0x3f116cb1, v60
	v_fmamk_f32 v83, v73, 0x3f62ad3f, v79
	v_mul_f32_e32 v44, 0xbeedf032, v44
	s_delay_alu instid0(VALU_DEP_1) | instskip(SKIP_1) | instid1(VALU_DEP_2)
	v_fmamk_f32 v84, v58, 0x3f62ad3f, v44
	v_fma_f32 v44, 0x3f62ad3f, v58, -v44
	v_add_f32_e32 v58, v8, v84
	s_delay_alu instid0(VALU_DEP_2) | instskip(SKIP_3) | instid1(VALU_DEP_3)
	v_add_f32_e32 v8, v8, v44
	v_fma_f32 v44, 0x3f116cb1, v59, -v60
	v_add_f32_e32 v59, v81, v0
	v_fmamk_f32 v60, v61, 0x3df6dbef, v63
	v_add_f32_e32 v8, v8, v44
	s_delay_alu instid0(VALU_DEP_3) | instskip(SKIP_3) | instid1(VALU_DEP_4)
	v_add_f32_e32 v44, v59, v2
	v_fma_f32 v59, 0x3df6dbef, v61, -v63
	v_mul_f32_e32 v61, 0xbf29c268, v70
	v_dual_add_f32 v58, v58, v82 :: v_dual_mul_f32 v63, 0xbe750f2a, v75
	v_add_f32_e32 v44, v6, v44
	s_delay_alu instid0(VALU_DEP_4) | instskip(SKIP_1) | instid1(VALU_DEP_4)
	v_add_f32_e32 v8, v8, v59
	v_fma_f32 v59, 0xbeb58ec6, v64, -v65
	v_add_f32_e32 v58, v58, v60
	v_fmamk_f32 v60, v64, 0xbeb58ec6, v65
	v_add_f32_e32 v44, v12, v44
	v_add_nc_u32_e32 v64, 0xd44, v57
	v_add_f32_e32 v8, v8, v59
	v_fma_f32 v59, 0xbf3f9e67, v69, -v61
	v_add_f32_e32 v58, v58, v60
	v_fmamk_f32 v60, v69, 0xbf3f9e67, v61
	v_add_nc_u32_e32 v69, 0xd54, v57
	v_fma_f32 v61, 0x3f62ad3f, v73, -v79
	v_add_f32_e32 v44, v16, v44
	v_add_f32_e32 v8, v8, v59
	;; [unrolled: 1-line block ×3, first 2 shown]
	v_fmamk_f32 v60, v73, 0xbf788fa5, v63
	v_fma_f32 v59, 0xbf788fa5, v73, -v63
	v_dual_add_f32 v44, v20, v44 :: v_dual_add_nc_u32 v65, 0xd4c, v57
	v_add_f32_e32 v63, v78, v83
	s_delay_alu instid0(VALU_DEP_4) | instskip(NEXT) | instid1(VALU_DEP_4)
	v_add_f32_e32 v58, v58, v60
	v_dual_add_f32 v8, v8, v59 :: v_dual_add_nc_u32 v59, 0xd34, v57
	v_add_f32_e32 v61, v80, v61
	v_add_nc_u32_e32 v60, 0xd3c, v57
	v_add_nc_u32_e32 v70, 0xd5c, v57
	v_add_f32_e32 v44, v18, v44
	ds_store_2addr_b32 v60, v61, v76 offset1:1
	ds_store_2addr_b32 v64, v74, v67 offset1:1
	;; [unrolled: 1-line block ×6, first 2 shown]
	ds_store_b32 v57, v58 offset:3428
.LBB0_17:
	s_wait_alu 0xfffe
	s_or_b32 exec_lo, exec_lo, s1
	v_sub_f32_e32 v50, v52, v50
	v_sub_f32_e32 v44, v54, v48
	;; [unrolled: 1-line block ×4, first 2 shown]
	s_delay_alu instid0(VALU_DEP_4)
	v_dual_sub_f32 v26, v26, v32 :: v_dual_mul_f32 v61, 0xbf6f5d39, v50
	v_add_f32_e32 v8, v45, v55
	v_dual_add_f32 v54, v51, v53 :: v_dual_mul_f32 v59, 0xbf29c268, v44
	v_dual_add_f32 v48, v49, v55 :: v_dual_mul_f32 v55, 0xbf7e222b, v44
	global_wb scope:SCOPE_SE
	s_wait_dscnt 0x0
	v_dual_fmamk_f32 v71, v54, 0xbeb58ec6, v61 :: v_dual_add_f32 v8, v8, v53
	v_mul_f32_e32 v63, 0x3f29c268, v50
	v_mul_f32_e32 v53, 0xbf52af12, v44
	v_fmamk_f32 v66, v48, 0x3df6dbef, v55
	v_fma_f32 v55, 0x3df6dbef, v48, -v55
	v_add_f32_e32 v8, v8, v43
	v_fmamk_f32 v69, v48, 0xbf3f9e67, v59
	v_mul_f32_e32 v60, 0xbf52af12, v50
	v_fma_f32 v59, 0xbf3f9e67, v48, -v59
	s_delay_alu instid0(VALU_DEP_4) | instskip(NEXT) | instid1(VALU_DEP_4)
	v_dual_add_f32 v55, v55, v45 :: v_dual_add_f32 v8, v8, v39
	v_add_f32_e32 v69, v69, v45
	v_fmamk_f32 v65, v48, 0x3f116cb1, v53
	v_fma_f32 v53, 0x3f116cb1, v48, -v53
	v_mul_f32_e32 v58, 0xbf6f5d39, v44
	v_fma_f32 v61, 0xbeb58ec6, v54, -v61
	v_dual_add_f32 v59, v59, v45 :: v_dual_mul_f32 v52, 0xbeedf032, v44
	v_add_f32_e32 v65, v65, v45
	v_dual_add_f32 v53, v53, v45 :: v_dual_add_f32 v8, v8, v35
	s_wait_kmcnt 0x0
	s_barrier_signal -1
	v_fmamk_f32 v64, v48, 0x3f62ad3f, v52
	v_fma_f32 v52, 0x3f62ad3f, v48, -v52
	v_dual_add_f32 v53, v53, v61 :: v_dual_add_f32 v8, v8, v27
	v_fmamk_f32 v61, v54, 0xbf3f9e67, v63
	s_barrier_wait -1
	global_inv scope:SCOPE_SE
	v_dual_add_f32 v43, v47, v43 :: v_dual_add_f32 v8, v8, v33
	v_fmamk_f32 v67, v48, 0xbeb58ec6, v58
	v_fma_f32 v58, 0xbeb58ec6, v48, -v58
	v_add_f32_e32 v39, v41, v39
	v_add_f32_e32 v35, v37, v35
	;; [unrolled: 1-line block ×3, first 2 shown]
	v_dual_mul_f32 v44, 0xbe750f2a, v44 :: v_dual_add_f32 v67, v67, v45
	v_dual_sub_f32 v34, v34, v36 :: v_dual_add_f32 v27, v33, v27
	s_delay_alu instid0(VALU_DEP_3) | instskip(NEXT) | instid1(VALU_DEP_3)
	v_add_f32_e32 v8, v41, v8
	v_fmamk_f32 v70, v48, 0xbf788fa5, v44
	v_mul_f32_e32 v62, 0xbe750f2a, v50
	v_fma_f32 v44, 0xbf788fa5, v48, -v44
	v_fmamk_f32 v48, v54, 0x3f116cb1, v60
	v_add_f32_e32 v8, v47, v8
	v_fma_f32 v60, 0x3f116cb1, v54, -v60
	v_dual_mul_f32 v47, 0xbf7e222b, v42 :: v_dual_add_f32 v52, v52, v45
	v_add_f32_e32 v44, v44, v45
	s_delay_alu instid0(VALU_DEP_4) | instskip(SKIP_1) | instid1(VALU_DEP_2)
	v_dual_add_f32 v8, v51, v8 :: v_dual_add_f32 v51, v70, v45
	v_dual_add_f32 v58, v58, v45 :: v_dual_mul_f32 v41, 0xbf6f5d39, v38
	v_dual_mul_f32 v37, 0xbf29c268, v34 :: v_dual_add_f32 v8, v49, v8
	v_dual_add_f32 v49, v65, v71 :: v_dual_add_f32 v64, v64, v45
	v_dual_add_f32 v66, v66, v45 :: v_dual_mul_f32 v33, 0xbe750f2a, v26
	v_lshlrev_b32_e32 v75, 2, v56
	s_delay_alu instid0(VALU_DEP_3)
	v_add_f32_e32 v45, v64, v48
	v_add_f32_e32 v48, v52, v60
	v_fmamk_f32 v52, v54, 0xbf788fa5, v62
	v_fma_f32 v60, 0xbf788fa5, v54, -v62
	v_fma_f32 v62, 0xbf3f9e67, v54, -v63
	v_mul_f32_e32 v63, 0x3f7e222b, v50
	s_delay_alu instid0(VALU_DEP_3) | instskip(SKIP_1) | instid1(VALU_DEP_3)
	v_dual_mul_f32 v50, 0x3eedf032, v50 :: v_dual_add_f32 v55, v55, v60
	v_add_f32_e32 v60, v67, v61
	v_fma_f32 v61, 0x3df6dbef, v54, -v63
	v_add_f32_e32 v58, v58, v62
	v_fmamk_f32 v46, v54, 0x3df6dbef, v63
	v_fmamk_f32 v62, v54, 0x3f62ad3f, v50
	v_fma_f32 v50, 0x3f62ad3f, v54, -v50
	v_add_f32_e32 v54, v59, v61
	v_fmamk_f32 v59, v43, 0x3df6dbef, v47
	v_mul_f32_e32 v61, 0xbe750f2a, v42
	v_fma_f32 v47, 0x3df6dbef, v43, -v47
	v_add_f32_e32 v46, v69, v46
	s_delay_alu instid0(VALU_DEP_4) | instskip(SKIP_4) | instid1(VALU_DEP_2)
	v_add_f32_e32 v45, v45, v59
	v_mul_f32_e32 v59, 0x3f6f5d39, v42
	v_add_f32_e32 v44, v44, v50
	v_fmamk_f32 v50, v43, 0xbf788fa5, v61
	v_fma_f32 v61, 0xbf788fa5, v43, -v61
	v_add_f32_e32 v49, v49, v50
	v_dual_add_f32 v47, v48, v47 :: v_dual_mul_f32 v48, 0x3eedf032, v42
	s_delay_alu instid0(VALU_DEP_3) | instskip(SKIP_2) | instid1(VALU_DEP_4)
	v_dual_fmamk_f32 v50, v43, 0xbeb58ec6, v59 :: v_dual_add_f32 v53, v53, v61
	v_add_f32_e32 v52, v66, v52
	v_fma_f32 v59, 0xbeb58ec6, v43, -v59
	v_fmamk_f32 v61, v43, 0x3f62ad3f, v48
	v_fma_f32 v48, 0x3f62ad3f, v43, -v48
	s_delay_alu instid0(VALU_DEP_3) | instskip(NEXT) | instid1(VALU_DEP_3)
	v_dual_add_f32 v50, v52, v50 :: v_dual_add_f32 v55, v55, v59
	v_dual_add_f32 v59, v60, v61 :: v_dual_mul_f32 v52, 0xbf52af12, v42
	v_mul_f32_e32 v42, 0xbf29c268, v42
	s_delay_alu instid0(VALU_DEP_4) | instskip(NEXT) | instid1(VALU_DEP_3)
	v_add_f32_e32 v48, v58, v48
	v_fmamk_f32 v40, v43, 0x3f116cb1, v52
	v_fma_f32 v52, 0x3f116cb1, v43, -v52
	s_delay_alu instid0(VALU_DEP_2) | instskip(SKIP_1) | instid1(VALU_DEP_3)
	v_add_f32_e32 v40, v46, v40
	v_fmamk_f32 v46, v43, 0xbf3f9e67, v42
	v_add_f32_e32 v52, v54, v52
	v_fma_f32 v42, 0xbf3f9e67, v43, -v42
	v_fmamk_f32 v43, v39, 0xbeb58ec6, v41
	v_mul_f32_e32 v54, 0x3f29c268, v38
	v_fma_f32 v41, 0xbeb58ec6, v39, -v41
	s_delay_alu instid0(VALU_DEP_3) | instskip(SKIP_1) | instid1(VALU_DEP_3)
	v_add_f32_e32 v43, v45, v43
	v_mul_f32_e32 v45, 0x3eedf032, v38
	v_add_f32_e32 v41, v47, v41
	v_fma_f32 v47, 0xbf3f9e67, v39, -v54
	s_delay_alu instid0(VALU_DEP_1) | instskip(SKIP_1) | instid1(VALU_DEP_1)
	v_dual_add_f32 v47, v53, v47 :: v_dual_add_f32 v42, v44, v42
	v_fmamk_f32 v44, v39, 0xbf3f9e67, v54
	v_dual_add_f32 v44, v49, v44 :: v_dual_fmamk_f32 v49, v39, 0x3f62ad3f, v45
	v_add_f32_e32 v51, v51, v62
	v_fma_f32 v45, 0x3f62ad3f, v39, -v45
	s_delay_alu instid0(VALU_DEP_2) | instskip(SKIP_1) | instid1(VALU_DEP_3)
	v_add_f32_e32 v46, v51, v46
	v_mul_f32_e32 v51, 0xbf7e222b, v38
	v_add_f32_e32 v45, v55, v45
	s_delay_alu instid0(VALU_DEP_2) | instskip(SKIP_2) | instid1(VALU_DEP_3)
	v_fmamk_f32 v53, v39, 0x3df6dbef, v51
	v_fma_f32 v51, 0x3df6dbef, v39, -v51
	v_add_f32_e32 v49, v50, v49
	v_dual_add_f32 v53, v59, v53 :: v_dual_mul_f32 v36, 0x3f52af12, v38
	s_delay_alu instid0(VALU_DEP_1) | instskip(SKIP_1) | instid1(VALU_DEP_2)
	v_dual_add_f32 v48, v48, v51 :: v_dual_fmamk_f32 v51, v39, 0x3f116cb1, v36
	v_fma_f32 v36, 0x3f116cb1, v39, -v36
	v_add_f32_e32 v46, v46, v51
	s_delay_alu instid0(VALU_DEP_2) | instskip(SKIP_1) | instid1(VALU_DEP_1)
	v_add_f32_e32 v36, v42, v36
	v_mul_f32_e32 v42, 0xbf52af12, v34
	v_fmamk_f32 v51, v35, 0x3f116cb1, v42
	v_fma_f32 v42, 0x3f116cb1, v35, -v42
	s_delay_alu instid0(VALU_DEP_1) | instskip(SKIP_2) | instid1(VALU_DEP_2)
	v_add_f32_e32 v42, v45, v42
	v_mul_f32_e32 v45, 0x3eedf032, v34
	v_mul_f32_e32 v50, 0x3e750f2a, v38
	v_fmamk_f32 v32, v35, 0x3f62ad3f, v45
	s_delay_alu instid0(VALU_DEP_2)
	v_fmamk_f32 v38, v39, 0xbf788fa5, v50
	v_fma_f32 v50, 0xbf788fa5, v39, -v50
	v_fmamk_f32 v39, v35, 0xbf3f9e67, v37
	v_fma_f32 v37, 0xbf3f9e67, v35, -v37
	v_fma_f32 v45, 0x3f62ad3f, v35, -v45
	v_add_f32_e32 v38, v40, v38
	v_add_f32_e32 v40, v52, v50
	v_dual_mul_f32 v50, 0x3f7e222b, v34 :: v_dual_add_f32 v39, v43, v39
	v_add_f32_e32 v37, v41, v37
	s_delay_alu instid0(VALU_DEP_4) | instskip(NEXT) | instid1(VALU_DEP_3)
	v_add_f32_e32 v59, v38, v32
	v_fmamk_f32 v43, v35, 0x3df6dbef, v50
	v_fma_f32 v41, 0x3df6dbef, v35, -v50
	v_mul_f32_e32 v50, 0x3e750f2a, v34
	s_delay_alu instid0(VALU_DEP_3) | instskip(NEXT) | instid1(VALU_DEP_3)
	v_dual_mul_f32 v34, 0xbf6f5d39, v34 :: v_dual_add_f32 v43, v44, v43
	v_add_f32_e32 v41, v47, v41
	v_add_f32_e32 v47, v49, v51
	s_delay_alu instid0(VALU_DEP_4) | instskip(NEXT) | instid1(VALU_DEP_4)
	v_fma_f32 v49, 0xbf788fa5, v35, -v50
	v_fma_f32 v32, 0xbeb58ec6, v35, -v34
	v_fmamk_f32 v44, v35, 0xbf788fa5, v50
	s_delay_alu instid0(VALU_DEP_3) | instskip(SKIP_4) | instid1(VALU_DEP_4)
	v_add_f32_e32 v58, v48, v49
	v_fmamk_f32 v48, v35, 0xbeb58ec6, v34
	v_fmamk_f32 v34, v27, 0xbf788fa5, v33
	v_fma_f32 v33, 0xbf788fa5, v27, -v33
	v_add_f32_e32 v62, v36, v32
	v_add_f32_e32 v61, v46, v48
	s_delay_alu instid0(VALU_DEP_4) | instskip(SKIP_4) | instid1(VALU_DEP_4)
	v_add_f32_e32 v63, v39, v34
	v_mul_f32_e32 v35, 0x3eedf032, v26
	v_mul_f32_e32 v32, 0xbf29c268, v26
	v_add_f32_e32 v64, v37, v33
	v_mul_f32_e32 v36, 0x3f52af12, v26
	v_fmamk_f32 v33, v27, 0x3f62ad3f, v35
	v_fma_f32 v34, 0x3f62ad3f, v27, -v35
	v_fmamk_f32 v35, v27, 0xbf3f9e67, v32
	v_fma_f32 v32, 0xbf3f9e67, v27, -v32
	v_fma_f32 v71, 0x3f116cb1, v27, -v36
	s_delay_alu instid0(VALU_DEP_4) | instskip(NEXT) | instid1(VALU_DEP_3)
	v_dual_add_f32 v65, v43, v33 :: v_dual_add_f32 v66, v41, v34
	v_dual_fmamk_f32 v33, v27, 0x3f116cb1, v36 :: v_dual_add_f32 v84, v42, v32
	v_mul_f32_e32 v34, 0xbf6f5d39, v26
	v_lshlrev_b32_e32 v32, 2, v68
	v_dual_mul_f32 v26, 0x3f7e222b, v26 :: v_dual_add_f32 v67, v47, v35
	s_delay_alu instid0(VALU_DEP_3) | instskip(SKIP_1) | instid1(VALU_DEP_4)
	v_fmamk_f32 v86, v27, 0xbeb58ec6, v34
	v_fma_f32 v88, 0xbeb58ec6, v27, -v34
	v_add3_u32 v70, 0, v32, v75
	v_add_f32_e32 v60, v40, v45
	v_add3_u32 v69, 0, v75, v32
	v_fmamk_f32 v89, v27, 0x3df6dbef, v26
	v_fma_f32 v26, 0x3df6dbef, v27, -v26
	v_add_nc_u32_e32 v77, 0xa00, v70
	v_add_nc_u32_e32 v73, 0x800, v70
	;; [unrolled: 1-line block ×4, first 2 shown]
	v_dual_add_f32 v27, v58, v71 :: v_dual_add_f32 v58, v59, v86
	v_add_nc_u32_e32 v71, 0x41, v68
	v_add_f32_e32 v59, v60, v88
	v_add_f32_e32 v44, v53, v44
	v_add_nc_u32_e32 v72, 0x400, v70
	v_add_nc_u32_e32 v76, 0x1200, v70
	;; [unrolled: 1-line block ×7, first 2 shown]
	v_add_f32_e32 v85, v44, v33
	ds_load_b32 v87, v69
	ds_load_2addr_b32 v[55:56], v72 offset0:69 offset1:134
	ds_load_2addr_b32 v[41:42], v73 offset0:73 offset1:138
	;; [unrolled: 1-line block ×12, first 2 shown]
	v_add_f32_e32 v60, v61, v89
	v_add_f32_e32 v26, v62, v26
	global_wb scope:SCOPE_SE
	s_wait_dscnt 0x0
	s_barrier_signal -1
	s_barrier_wait -1
	global_inv scope:SCOPE_SE
	ds_store_2addr_b32 v57, v8, v63 offset1:1
	ds_store_2addr_b32 v57, v65, v67 offset0:2 offset1:3
	ds_store_2addr_b32 v57, v85, v58 offset0:4 offset1:5
	;; [unrolled: 1-line block ×5, first 2 shown]
	ds_store_b32 v57, v64 offset:48
	s_and_saveexec_b32 s1, s0
	s_cbranch_execz .LBB0_19
; %bb.18:
	v_sub_f32_e32 v18, v24, v18
	v_add_f32_e32 v8, v9, v25
	v_dual_add_f32 v24, v25, v19 :: v_dual_add_f32 v25, v23, v21
	s_delay_alu instid0(VALU_DEP_3) | instskip(NEXT) | instid1(VALU_DEP_3)
	v_dual_sub_f32 v20, v22, v20 :: v_dual_mul_f32 v57, 0xbf29c268, v18
	v_dual_add_f32 v8, v8, v23 :: v_dual_mul_f32 v27, 0xbf6f5d39, v18
	v_mul_f32_e32 v23, 0xbf52af12, v18
	s_delay_alu instid0(VALU_DEP_3) | instskip(NEXT) | instid1(VALU_DEP_3)
	v_mul_f32_e32 v59, 0xbf6f5d39, v20
	v_dual_mul_f32 v61, 0x3f29c268, v20 :: v_dual_add_f32 v8, v8, v15
	s_delay_alu instid0(VALU_DEP_4) | instskip(SKIP_4) | instid1(VALU_DEP_4)
	v_fmamk_f32 v65, v24, 0xbeb58ec6, v27
	v_fma_f32 v27, 0xbeb58ec6, v24, -v27
	v_mul_f32_e32 v58, 0xbf52af12, v20
	v_dual_fmamk_f32 v84, v25, 0xbeb58ec6, v59 :: v_dual_add_f32 v15, v15, v17
	v_fma_f32 v59, 0xbeb58ec6, v25, -v59
	v_add_f32_e32 v27, v9, v27
	v_fmamk_f32 v63, v24, 0x3f116cb1, v23
	v_fmamk_f32 v66, v24, 0xbf3f9e67, v57
	v_fma_f32 v57, 0xbf3f9e67, v24, -v57
	v_add_f32_e32 v8, v8, v11
	s_delay_alu instid0(VALU_DEP_4) | instskip(SKIP_1) | instid1(VALU_DEP_4)
	v_dual_mul_f32 v22, 0xbeedf032, v18 :: v_dual_add_f32 v63, v9, v63
	v_fma_f32 v23, 0x3f116cb1, v24, -v23
	v_add_f32_e32 v57, v9, v57
	s_delay_alu instid0(VALU_DEP_4) | instskip(SKIP_1) | instid1(VALU_DEP_4)
	v_add_f32_e32 v8, v8, v5
	v_mul_f32_e32 v26, 0xbf7e222b, v18
	v_dual_sub_f32 v14, v14, v16 :: v_dual_add_f32 v23, v9, v23
	v_sub_f32_e32 v10, v10, v12
	s_delay_alu instid0(VALU_DEP_4) | instskip(NEXT) | instid1(VALU_DEP_4)
	v_add_f32_e32 v8, v8, v1
	v_fmamk_f32 v64, v24, 0x3df6dbef, v26
	v_fma_f32 v26, 0x3df6dbef, v24, -v26
	v_add_f32_e32 v23, v23, v59
	s_delay_alu instid0(VALU_DEP_4) | instskip(NEXT) | instid1(VALU_DEP_4)
	v_dual_fmamk_f32 v59, v25, 0xbf3f9e67, v61 :: v_dual_add_f32 v8, v8, v3
	v_add_f32_e32 v64, v9, v64
	v_dual_sub_f32 v4, v4, v6 :: v_dual_add_f32 v11, v11, v13
	s_delay_alu instid0(VALU_DEP_3) | instskip(SKIP_1) | instid1(VALU_DEP_3)
	v_dual_add_f32 v5, v5, v7 :: v_dual_add_f32 v8, v7, v8
	v_dual_mul_f32 v18, 0xbe750f2a, v18 :: v_dual_add_f32 v65, v9, v65
	v_mul_f32_e32 v7, 0xbf29c268, v4
	v_add_f32_e32 v1, v1, v3
	s_delay_alu instid0(VALU_DEP_3)
	v_dual_add_f32 v8, v13, v8 :: v_dual_fmamk_f32 v67, v24, 0xbf788fa5, v18
	v_fma_f32 v18, 0xbf788fa5, v24, -v18
	v_fmamk_f32 v62, v24, 0x3f62ad3f, v22
	v_fma_f32 v22, 0x3f62ad3f, v24, -v22
	v_fmamk_f32 v24, v25, 0x3f116cb1, v58
	v_fma_f32 v58, 0x3f116cb1, v25, -v58
	v_add_f32_e32 v8, v17, v8
	v_add_f32_e32 v62, v9, v62
	v_mul_f32_e32 v60, 0xbe750f2a, v20
	v_mul_f32_e32 v17, 0xbf7e222b, v14
	v_add_f32_e32 v22, v9, v22
	v_add_f32_e32 v8, v21, v8
	v_add_f32_e32 v21, v9, v67
	v_mul_f32_e32 v13, 0xbf6f5d39, v10
	v_sub_f32_e32 v0, v0, v2
	v_add_f32_e32 v22, v22, v58
	v_add_f32_e32 v26, v9, v26
	v_fma_f32 v58, 0xbf788fa5, v25, -v60
	s_delay_alu instid0(VALU_DEP_1)
	v_dual_mul_f32 v3, 0xbe750f2a, v0 :: v_dual_add_f32 v26, v26, v58
	v_add_f32_e32 v58, v65, v59
	v_add_f32_e32 v8, v19, v8
	v_dual_add_f32 v19, v63, v84 :: v_dual_add_f32 v66, v9, v66
	v_dual_add_f32 v9, v9, v18 :: v_dual_add_f32 v18, v62, v24
	v_fmamk_f32 v24, v25, 0xbf788fa5, v60
	v_fma_f32 v60, 0xbf3f9e67, v25, -v61
	v_mul_f32_e32 v61, 0x3f7e222b, v20
	v_mul_f32_e32 v20, 0x3eedf032, v20
	s_delay_alu instid0(VALU_DEP_3) | instskip(NEXT) | instid1(VALU_DEP_3)
	v_add_f32_e32 v27, v27, v60
	v_fma_f32 v59, 0x3df6dbef, v25, -v61
	v_fmamk_f32 v16, v25, 0x3df6dbef, v61
	s_delay_alu instid0(VALU_DEP_4) | instskip(SKIP_1) | instid1(VALU_DEP_4)
	v_fmamk_f32 v60, v25, 0x3f62ad3f, v20
	v_fma_f32 v20, 0x3f62ad3f, v25, -v20
	v_add_f32_e32 v25, v57, v59
	v_fmamk_f32 v57, v15, 0x3df6dbef, v17
	v_mul_f32_e32 v59, 0xbe750f2a, v14
	v_fma_f32 v17, 0x3df6dbef, v15, -v17
	v_add_f32_e32 v21, v21, v60
	s_delay_alu instid0(VALU_DEP_4) | instskip(SKIP_1) | instid1(VALU_DEP_4)
	v_dual_add_f32 v9, v9, v20 :: v_dual_add_f32 v18, v18, v57
	v_mul_f32_e32 v57, 0x3f6f5d39, v14
	v_dual_add_f32 v17, v22, v17 :: v_dual_fmamk_f32 v20, v15, 0xbf788fa5, v59
	v_fma_f32 v59, 0xbf788fa5, v15, -v59
	v_mul_f32_e32 v22, 0x3eedf032, v14
	v_add_f32_e32 v24, v64, v24
	s_delay_alu instid0(VALU_DEP_4)
	v_add_f32_e32 v19, v19, v20
	v_fmamk_f32 v20, v15, 0xbeb58ec6, v57
	v_add_f32_e32 v23, v23, v59
	v_fmamk_f32 v59, v15, 0x3f62ad3f, v22
	v_fma_f32 v22, 0x3f62ad3f, v15, -v22
	v_add_f32_e32 v16, v66, v16
	v_add_f32_e32 v20, v24, v20
	v_fma_f32 v57, 0xbeb58ec6, v15, -v57
	s_delay_alu instid0(VALU_DEP_4) | instskip(SKIP_2) | instid1(VALU_DEP_2)
	v_add_f32_e32 v22, v27, v22
	v_mul_f32_e32 v24, 0xbf52af12, v14
	v_mul_f32_e32 v14, 0xbf29c268, v14
	v_fmamk_f32 v12, v15, 0x3f116cb1, v24
	v_fma_f32 v24, 0x3f116cb1, v15, -v24
	s_delay_alu instid0(VALU_DEP_1) | instskip(NEXT) | instid1(VALU_DEP_3)
	v_dual_add_f32 v24, v25, v24 :: v_dual_mul_f32 v25, 0x3f29c268, v10
	v_add_f32_e32 v12, v16, v12
	v_fmamk_f32 v16, v15, 0xbf3f9e67, v14
	v_fma_f32 v14, 0xbf3f9e67, v15, -v14
	v_fmamk_f32 v15, v11, 0xbeb58ec6, v13
	v_fma_f32 v13, 0xbeb58ec6, v11, -v13
	s_delay_alu instid0(VALU_DEP_4) | instskip(NEXT) | instid1(VALU_DEP_4)
	v_dual_add_f32 v16, v21, v16 :: v_dual_mul_f32 v21, 0xbf7e222b, v10
	v_add_f32_e32 v9, v9, v14
	s_delay_alu instid0(VALU_DEP_3) | instskip(SKIP_2) | instid1(VALU_DEP_2)
	v_add_f32_e32 v13, v17, v13
	v_fma_f32 v17, 0xbf3f9e67, v11, -v25
	v_dual_add_f32 v14, v18, v15 :: v_dual_fmamk_f32 v15, v11, 0xbf3f9e67, v25
	v_add_f32_e32 v17, v23, v17
	v_fmamk_f32 v23, v11, 0x3df6dbef, v21
	v_mul_f32_e32 v18, 0x3eedf032, v10
	v_add_f32_e32 v26, v26, v57
	v_add_f32_e32 v57, v58, v59
	;; [unrolled: 1-line block ×3, first 2 shown]
	v_fma_f32 v21, 0x3df6dbef, v11, -v21
	v_fmamk_f32 v19, v11, 0x3f62ad3f, v18
	s_delay_alu instid0(VALU_DEP_4) | instskip(SKIP_1) | instid1(VALU_DEP_4)
	v_dual_mul_f32 v6, 0x3f52af12, v10 :: v_dual_add_f32 v23, v57, v23
	v_fma_f32 v18, 0x3f62ad3f, v11, -v18
	v_add_f32_e32 v21, v22, v21
	s_delay_alu instid0(VALU_DEP_4) | instskip(NEXT) | instid1(VALU_DEP_4)
	v_dual_add_f32 v19, v20, v19 :: v_dual_mul_f32 v20, 0x3e750f2a, v10
	v_fmamk_f32 v22, v11, 0x3f116cb1, v6
	v_fma_f32 v6, 0x3f116cb1, v11, -v6
	s_delay_alu instid0(VALU_DEP_2) | instskip(NEXT) | instid1(VALU_DEP_4)
	v_add_f32_e32 v16, v16, v22
	v_fmamk_f32 v10, v11, 0xbf788fa5, v20
	v_fma_f32 v20, 0xbf788fa5, v11, -v20
	v_fmamk_f32 v11, v5, 0xbf3f9e67, v7
	v_fma_f32 v7, 0xbf3f9e67, v5, -v7
	v_add_f32_e32 v6, v9, v6
	s_delay_alu instid0(VALU_DEP_3) | instskip(SKIP_1) | instid1(VALU_DEP_4)
	v_dual_add_f32 v10, v12, v10 :: v_dual_add_f32 v9, v14, v11
	v_mul_f32_e32 v11, 0xbf52af12, v4
	v_dual_add_f32 v7, v13, v7 :: v_dual_add_f32 v12, v24, v20
	v_mul_f32_e32 v20, 0x3f7e222b, v4
	s_delay_alu instid0(VALU_DEP_3) | instskip(SKIP_1) | instid1(VALU_DEP_3)
	v_fmamk_f32 v22, v5, 0x3f116cb1, v11
	v_fma_f32 v11, 0x3f116cb1, v5, -v11
	v_fmamk_f32 v14, v5, 0x3df6dbef, v20
	v_fma_f32 v13, 0x3df6dbef, v5, -v20
	v_mul_f32_e32 v20, 0x3e750f2a, v4
	s_delay_alu instid0(VALU_DEP_2) | instskip(SKIP_1) | instid1(VALU_DEP_3)
	v_dual_add_f32 v18, v26, v18 :: v_dual_add_f32 v13, v17, v13
	v_add_f32_e32 v17, v19, v22
	v_fma_f32 v19, 0xbf788fa5, v5, -v20
	v_dual_add_f32 v14, v15, v14 :: v_dual_fmamk_f32 v15, v5, 0xbf788fa5, v20
	s_delay_alu instid0(VALU_DEP_4) | instskip(NEXT) | instid1(VALU_DEP_3)
	v_add_f32_e32 v11, v18, v11
	v_dual_add_f32 v19, v21, v19 :: v_dual_mul_f32 v18, 0x3eedf032, v4
	s_delay_alu instid0(VALU_DEP_3) | instskip(NEXT) | instid1(VALU_DEP_2)
	v_dual_mul_f32 v4, 0xbf6f5d39, v4 :: v_dual_add_f32 v15, v23, v15
	v_fmamk_f32 v2, v5, 0x3f62ad3f, v18
	v_fma_f32 v18, 0x3f62ad3f, v5, -v18
	s_delay_alu instid0(VALU_DEP_3) | instskip(SKIP_1) | instid1(VALU_DEP_4)
	v_fmamk_f32 v20, v5, 0xbeb58ec6, v4
	v_fma_f32 v4, 0xbeb58ec6, v5, -v4
	v_add_f32_e32 v2, v10, v2
	s_delay_alu instid0(VALU_DEP_4) | instskip(NEXT) | instid1(VALU_DEP_4)
	v_add_f32_e32 v10, v12, v18
	v_dual_add_f32 v5, v16, v20 :: v_dual_fmamk_f32 v12, v1, 0xbf788fa5, v3
	v_mul_f32_e32 v16, 0x3eedf032, v0
	v_fma_f32 v3, 0xbf788fa5, v1, -v3
	v_add_f32_e32 v4, v6, v4
	v_mul_f32_e32 v6, 0xbf29c268, v0
	v_add_f32_e32 v9, v9, v12
	s_delay_alu instid0(VALU_DEP_4) | instskip(SKIP_1) | instid1(VALU_DEP_4)
	v_dual_fmamk_f32 v12, v1, 0x3f62ad3f, v16 :: v_dual_add_f32 v3, v7, v3
	v_fma_f32 v7, 0x3f62ad3f, v1, -v16
	v_fmamk_f32 v16, v1, 0xbf3f9e67, v6
	v_fma_f32 v6, 0xbf3f9e67, v1, -v6
	s_delay_alu instid0(VALU_DEP_3) | instskip(NEXT) | instid1(VALU_DEP_2)
	v_add_f32_e32 v7, v13, v7
	v_dual_add_f32 v13, v17, v16 :: v_dual_add_f32 v6, v11, v6
	v_mul_f32_e32 v11, 0xbf6f5d39, v0
	s_delay_alu instid0(VALU_DEP_1) | instskip(SKIP_2) | instid1(VALU_DEP_3)
	v_dual_add_f32 v12, v14, v12 :: v_dual_fmamk_f32 v17, v1, 0xbeb58ec6, v11
	v_mul_f32_e32 v18, 0x3f52af12, v0
	v_mul_f32_e32 v0, 0x3f7e222b, v0
	v_add_f32_e32 v2, v2, v17
	s_delay_alu instid0(VALU_DEP_3) | instskip(SKIP_1) | instid1(VALU_DEP_4)
	v_fmamk_f32 v14, v1, 0x3f116cb1, v18
	v_fma_f32 v16, 0x3f116cb1, v1, -v18
	v_fmamk_f32 v18, v1, 0x3df6dbef, v0
	v_fma_f32 v0, 0x3df6dbef, v1, -v0
	v_fma_f32 v1, 0xbeb58ec6, v1, -v11
	v_add_f32_e32 v14, v15, v14
	v_add_f32_e32 v15, v19, v16
	v_mul_u32_u24_e32 v16, 52, v71
	v_dual_add_f32 v5, v5, v18 :: v_dual_add_f32 v0, v4, v0
	v_add_f32_e32 v1, v10, v1
	s_delay_alu instid0(VALU_DEP_3)
	v_add3_u32 v11, 0, v16, v75
	ds_store_2addr_b32 v11, v8, v9 offset1:1
	ds_store_2addr_b32 v11, v12, v13 offset0:2 offset1:3
	ds_store_2addr_b32 v11, v14, v2 offset0:4 offset1:5
	;; [unrolled: 1-line block ×5, first 2 shown]
	ds_store_b32 v11, v3 offset:48
.LBB0_19:
	s_wait_alu 0xfffe
	s_or_b32 exec_lo, exec_lo, s1
	v_and_b32_e32 v0, 0xff, v68
	global_wb scope:SCOPE_SE
	s_wait_dscnt 0x0
	s_barrier_signal -1
	s_barrier_wait -1
	global_inv scope:SCOPE_SE
	v_mul_lo_u16 v0, 0x4f, v0
	s_delay_alu instid0(VALU_DEP_1) | instskip(NEXT) | instid1(VALU_DEP_1)
	v_lshrrev_b16 v99, 10, v0
	v_mul_lo_u16 v0, v99, 13
	s_delay_alu instid0(VALU_DEP_1) | instskip(NEXT) | instid1(VALU_DEP_1)
	v_sub_nc_u16 v0, v68, v0
	v_and_b32_e32 v100, 0xff, v0
	s_delay_alu instid0(VALU_DEP_1)
	v_lshlrev_b32_e32 v0, 5, v100
	s_clause 0x1
	global_load_b128 v[102:105], v0, s[8:9]
	global_load_b128 v[114:117], v0, s[8:9] offset:16
	v_and_b32_e32 v1, 0xff, v71
	v_add_nc_u32_e32 v86, 0x104, v68
	s_delay_alu instid0(VALU_DEP_2) | instskip(NEXT) | instid1(VALU_DEP_1)
	v_mul_lo_u16 v1, 0x4f, v1
	v_lshrrev_b16 v90, 10, v1
	s_delay_alu instid0(VALU_DEP_1) | instskip(NEXT) | instid1(VALU_DEP_1)
	v_mul_lo_u16 v1, v90, 13
	v_sub_nc_u16 v1, v71, v1
	s_wait_loadcnt 0x1
	v_mul_f32_e32 v101, v42, v105
	s_delay_alu instid0(VALU_DEP_2) | instskip(NEXT) | instid1(VALU_DEP_1)
	v_and_b32_e32 v92, 0xff, v1
	v_dual_mul_f32 v108, v55, v103 :: v_dual_lshlrev_b32 v1, 5, v92
	s_clause 0x1
	global_load_b128 v[110:113], v1, s[8:9]
	global_load_b128 v[24:27], v1, s[8:9] offset:16
	v_add_nc_u32_e32 v84, 0x82, v68
	v_add_nc_u32_e32 v85, 0xc3, v68
	v_and_b32_e32 v91, 0xffff, v86
	s_delay_alu instid0(VALU_DEP_3) | instskip(NEXT) | instid1(VALU_DEP_1)
	v_and_b32_e32 v89, 0xff, v84
	v_mul_lo_u16 v2, 0x4f, v89
	s_delay_alu instid0(VALU_DEP_1) | instskip(NEXT) | instid1(VALU_DEP_1)
	v_lshrrev_b16 v93, 10, v2
	v_mul_lo_u16 v0, v93, 13
	s_delay_alu instid0(VALU_DEP_1) | instskip(NEXT) | instid1(VALU_DEP_1)
	v_sub_nc_u16 v0, v84, v0
	v_and_b32_e32 v96, 0xff, v0
	v_mul_u32_u24_e32 v0, 0x4ec5, v91
	s_delay_alu instid0(VALU_DEP_2) | instskip(NEXT) | instid1(VALU_DEP_2)
	v_lshlrev_b32_e32 v4, 5, v96
	v_lshrrev_b32_e32 v94, 18, v0
	global_load_b128 v[16:19], v4, s[8:9]
	s_wait_loadcnt 0x2
	v_mul_f32_e32 v106, v56, v111
	v_and_b32_e32 v88, 0xffff, v85
	s_delay_alu instid0(VALU_DEP_1) | instskip(NEXT) | instid1(VALU_DEP_1)
	v_mul_u32_u24_e32 v2, 0x4ec5, v88
	v_lshrrev_b32_e32 v95, 18, v2
	s_delay_alu instid0(VALU_DEP_1) | instskip(NEXT) | instid1(VALU_DEP_1)
	v_mul_lo_u16 v1, v95, 13
	v_sub_nc_u16 v0, v85, v1
	v_mul_lo_u16 v1, v94, 13
	s_delay_alu instid0(VALU_DEP_2) | instskip(NEXT) | instid1(VALU_DEP_2)
	v_and_b32_e32 v97, 0xffff, v0
	v_sub_nc_u16 v0, v86, v1
	s_delay_alu instid0(VALU_DEP_2) | instskip(SKIP_2) | instid1(VALU_DEP_1)
	v_lshlrev_b32_e32 v8, 5, v97
	global_load_b128 v[12:15], v8, s[8:9]
	v_and_b32_e32 v98, 0xffff, v0
	v_lshlrev_b32_e32 v20, 5, v98
	s_clause 0x3
	global_load_b128 v[0:3], v20, s[8:9]
	global_load_b128 v[4:7], v4, s[8:9] offset:16
	global_load_b128 v[8:11], v8, s[8:9] offset:16
	;; [unrolled: 1-line block ×3, first 2 shown]
	ds_load_2addr_b32 v[118:119], v72 offset0:69 offset1:134
	ds_load_2addr_b32 v[61:62], v73 offset0:73 offset1:138
	;; [unrolled: 1-line block ×6, first 2 shown]
	s_wait_dscnt 0x5
	v_mul_f32_e32 v63, v118, v103
	s_wait_dscnt 0x4
	v_dual_mul_f32 v64, v62, v105 :: v_dual_mul_f32 v103, v119, v111
	s_wait_dscnt 0x2
	v_dual_fmac_f32 v101, v62, v104 :: v_dual_mul_f32 v62, v120, v115
	v_fma_f32 v109, v55, v102, -v63
	s_delay_alu instid0(VALU_DEP_3)
	v_fma_f32 v105, v42, v104, -v64
	ds_load_2addr_b32 v[64:65], v79 offset0:71 offset1:136
	v_mul_f32_e32 v42, v66, v113
	v_fma_f32 v107, v56, v110, -v103
	v_dual_mul_f32 v103, v51, v113 :: v_dual_fmac_f32 v108, v118, v102
	v_fmac_f32_e32 v106, v119, v110
	s_delay_alu instid0(VALU_DEP_4)
	v_fma_f32 v104, v51, v112, -v42
	s_wait_dscnt 0x2
	v_mul_f32_e32 v42, v58, v117
	v_dual_fmac_f32 v103, v66, v112 :: v_dual_mul_f32 v66, v53, v115
	v_mul_f32_e32 v51, v38, v117
	s_wait_loadcnt 0x6
	v_mul_f32_e32 v110, v121, v25
	v_fma_f32 v102, v53, v114, -v62
	v_fma_f32 v53, v38, v116, -v42
	s_wait_dscnt 0x1
	v_mul_f32_e32 v38, v59, v27
	v_dual_mul_f32 v42, v39, v27 :: v_dual_fmac_f32 v51, v58, v116
	v_mul_f32_e32 v58, v54, v25
	v_fma_f32 v54, v54, v24, -v110
	s_delay_alu instid0(VALU_DEP_4) | instskip(NEXT) | instid1(VALU_DEP_4)
	v_fma_f32 v110, v39, v26, -v38
	v_fmac_f32_e32 v42, v59, v26
	s_wait_loadcnt 0x5
	v_mul_f32_e32 v26, v67, v19
	v_mul_f32_e32 v19, v52, v19
	ds_load_2addr_b32 v[55:56], v82 offset0:77 offset1:142
	v_and_b32_e32 v27, 0xffff, v99
	ds_load_2addr_b32 v[62:63], v80 offset0:81 offset1:146
	v_fma_f32 v111, v52, v18, -v26
	v_dual_fmac_f32 v19, v67, v18 :: v_dual_lshlrev_b32 v100, 2, v100
	v_mad_u32_u24 v59, 0x104, v27, 0
	ds_load_b32 v99, v69
	ds_load_2addr_b32 v[38:39], v70 offset0:65 offset1:130
	v_sub_f32_e32 v67, v103, v106
	ds_load_2addr_b32 v[26:27], v81 offset0:67 offset1:132
	v_add3_u32 v52, v59, v100, v75
	s_wait_dscnt 0x5
	v_mul_f32_e32 v59, v64, v17
	v_mul_f32_e32 v17, v49, v17
	s_delay_alu instid0(VALU_DEP_2) | instskip(NEXT) | instid1(VALU_DEP_2)
	v_fma_f32 v49, v49, v16, -v59
	v_fmac_f32_e32 v17, v64, v16
	v_fmac_f32_e32 v66, v120, v114
	v_sub_f32_e32 v64, v106, v103
	s_wait_loadcnt 0x4
	v_mul_f32_e32 v18, v65, v13
	v_mul_f32_e32 v13, v50, v13
	s_delay_alu instid0(VALU_DEP_1)
	v_fmac_f32_e32 v13, v65, v12
	v_fmac_f32_e32 v58, v121, v24
	ds_load_2addr_b32 v[24:25], v83 offset0:87 offset1:152
	s_wait_loadcnt 0x3
	v_mul_f32_e32 v59, v61, v1
	s_wait_dscnt 0x5
	v_dual_mul_f32 v1, v41, v1 :: v_dual_mul_f32 v16, v55, v15
	v_mul_f32_e32 v15, v47, v15
	global_wb scope:SCOPE_SE
	s_wait_loadcnt_dscnt 0x0
	v_fma_f32 v41, v41, v0, -v59
	v_fmac_f32_e32 v1, v61, v0
	v_fma_f32 v16, v47, v14, -v16
	v_fmac_f32_e32 v15, v55, v14
	v_mul_f32_e32 v0, v43, v11
	s_barrier_signal -1
	s_barrier_wait -1
	global_inv scope:SCOPE_SE
	v_mul_f32_e32 v47, v63, v9
	v_mul_f32_e32 v9, v46, v9
	v_sub_f32_e32 v59, v66, v51
	v_sub_f32_e32 v61, v110, v54
	v_mul_f32_e32 v55, v24, v11
	v_fma_f32 v18, v50, v12, -v18
	v_mul_f32_e32 v50, v56, v3
	v_mul_f32_e32 v3, v48, v3
	v_dual_mul_f32 v12, v60, v7 :: v_dual_mul_f32 v11, v57, v21
	v_dual_mul_f32 v7, v40, v7 :: v_dual_mul_f32 v14, v62, v5
	s_delay_alu instid0(VALU_DEP_3) | instskip(SKIP_4) | instid1(VALU_DEP_4)
	v_fmac_f32_e32 v3, v56, v2
	v_mul_f32_e32 v5, v45, v5
	v_fma_f32 v48, v48, v2, -v50
	v_mul_f32_e32 v21, v37, v21
	v_dual_mul_f32 v50, v25, v23 :: v_dual_fmac_f32 v7, v60, v6
	v_dual_mul_f32 v2, v44, v23 :: v_dual_fmac_f32 v5, v62, v4
	v_fma_f32 v12, v40, v6, -v12
	v_fma_f32 v6, v45, v4, -v14
	;; [unrolled: 1-line block ×3, first 2 shown]
	v_dual_fmac_f32 v9, v63, v8 :: v_dual_fmac_f32 v0, v24, v10
	v_fma_f32 v8, v43, v10, -v55
	v_fma_f32 v10, v37, v20, -v11
	v_dual_fmac_f32 v21, v57, v20 :: v_dual_add_f32 v20, v87, v109
	v_fma_f32 v11, v44, v22, -v50
	v_dual_fmac_f32 v2, v25, v22 :: v_dual_sub_f32 v43, v102, v53
	v_dual_add_f32 v14, v105, v102 :: v_dual_add_f32 v55, v108, v51
	v_dual_sub_f32 v22, v109, v105 :: v_dual_sub_f32 v47, v51, v66
	v_dual_sub_f32 v23, v53, v102 :: v_dual_sub_f32 v24, v108, v51
	;; [unrolled: 1-line block ×3, first 2 shown]
	v_dual_sub_f32 v37, v105, v109 :: v_dual_add_f32 v56, v99, v108
	v_sub_f32_e32 v40, v105, v102
	v_add_f32_e32 v44, v109, v53
	v_dual_sub_f32 v45, v109, v53 :: v_dual_sub_f32 v60, v107, v104
	v_add_f32_e32 v50, v101, v66
	v_dual_sub_f32 v57, v101, v108 :: v_dual_sub_f32 v62, v104, v107
	v_dual_sub_f32 v63, v54, v110 :: v_dual_add_f32 v108, v33, v107
	v_dual_sub_f32 v65, v42, v58 :: v_dual_add_f32 v20, v20, v105
	v_sub_f32_e32 v100, v58, v42
	v_add_f32_e32 v113, v38, v106
	v_dual_add_f32 v109, v104, v54 :: v_dual_add_f32 v22, v22, v23
	v_sub_f32_e32 v112, v104, v54
	v_sub_f32_e32 v114, v103, v58
	v_add_f32_e32 v115, v103, v58
	v_add_f32_e32 v116, v107, v110
	v_sub_f32_e32 v107, v107, v110
	v_fma_f32 v14, -0.5, v14, v87
	v_fmac_f32_e32 v87, -0.5, v44
	v_add_f32_e32 v23, v37, v43
	v_sub_f32_e32 v117, v106, v42
	v_add_f32_e32 v106, v106, v42
	v_add_f32_e32 v37, v46, v47
	v_fma_f32 v43, -0.5, v50, v99
	v_fmac_f32_e32 v99, -0.5, v55
	v_dual_add_f32 v55, v56, v101 :: v_dual_add_f32 v44, v57, v59
	v_dual_add_f32 v46, v60, v61 :: v_dual_add_f32 v47, v62, v63
	v_add_f32_e32 v50, v64, v65
	v_add_f32_e32 v56, v67, v100
	v_dual_add_f32 v57, v108, v104 :: v_dual_sub_f32 v60, v49, v111
	v_dual_add_f32 v59, v113, v103 :: v_dual_add_f32 v62, v111, v6
	v_dual_sub_f32 v61, v12, v6 :: v_dual_add_f32 v64, v34, v49
	v_dual_add_f32 v63, v49, v12 :: v_dual_sub_f32 v108, v19, v17
	v_dual_sub_f32 v65, v111, v49 :: v_dual_sub_f32 v100, v17, v19
	v_dual_sub_f32 v67, v6, v12 :: v_dual_add_f32 v104, v17, v7
	v_dual_sub_f32 v101, v7, v5 :: v_dual_sub_f32 v118, v18, v16
	v_dual_add_f32 v103, v19, v5 :: v_dual_add_f32 v20, v20, v102
	v_dual_add_f32 v105, v39, v17 :: v_dual_sub_f32 v102, v8, v4
	v_sub_f32_e32 v113, v5, v7
	v_dual_add_f32 v55, v55, v66 :: v_dual_add_f32 v60, v60, v61
	v_sub_f32_e32 v66, v16, v18
	v_dual_add_f32 v54, v57, v54 :: v_dual_sub_f32 v57, v4, v8
	v_dual_add_f32 v58, v59, v58 :: v_dual_sub_f32 v59, v13, v15
	v_sub_f32_e32 v61, v0, v9
	v_fma_f32 v62, -0.5, v62, v34
	v_dual_fmac_f32 v34, -0.5, v63 :: v_dual_sub_f32 v63, v15, v13
	v_dual_add_f32 v102, v118, v102 :: v_dual_add_f32 v65, v65, v67
	v_dual_add_f32 v100, v100, v101 :: v_dual_sub_f32 v67, v9, v0
	v_fma_f32 v103, -0.5, v103, v39
	v_dual_fmac_f32 v39, -0.5, v104 :: v_dual_add_f32 v118, v41, v11
	v_dual_sub_f32 v104, v11, v10 :: v_dual_add_f32 v57, v66, v57
	s_delay_alu instid0(VALU_DEP_4)
	v_dual_add_f32 v66, v36, v41 :: v_dual_add_f32 v63, v63, v67
	v_add_f32_e32 v59, v59, v61
	v_sub_f32_e32 v61, v48, v41
	v_dual_sub_f32 v67, v10, v11 :: v_dual_add_f32 v20, v20, v53
	v_dual_sub_f32 v101, v41, v48 :: v_dual_add_f32 v108, v108, v113
	v_fma_f32 v109, -0.5, v109, v33
	s_delay_alu instid0(VALU_DEP_3)
	v_add_f32_e32 v61, v61, v67
	v_add_f32_e32 v67, v35, v18
	v_add_f32_e32 v113, v48, v10
	v_fma_f32 v33, -0.5, v116, v33
	v_fma_f32 v115, -0.5, v115, v38
	;; [unrolled: 1-line block ×3, first 2 shown]
	v_fmamk_f32 v116, v45, 0xbf737871, v43
	v_fma_f32 v106, -0.5, v113, v36
	v_sub_f32_e32 v113, v19, v5
	v_fmac_f32_e32 v43, 0x3f737871, v45
	v_dual_add_f32 v101, v101, v104 :: v_dual_add_f32 v64, v64, v111
	v_dual_sub_f32 v104, v111, v6 :: v_dual_add_f32 v111, v16, v4
	v_add_f32_e32 v19, v105, v19
	v_fmamk_f32 v53, v25, 0xbf737871, v87
	v_fmac_f32_e32 v87, 0x3f737871, v25
	v_add_f32_e32 v51, v55, v51
	v_fmamk_f32 v55, v40, 0x3f737871, v99
	v_dual_fmac_f32 v99, 0xbf737871, v40 :: v_dual_add_f32 v6, v64, v6
	v_fmac_f32_e32 v116, 0xbf167918, v40
	v_dual_fmac_f32 v43, 0x3f167918, v40 :: v_dual_sub_f32 v64, v3, v21
	v_sub_f32_e32 v40, v49, v12
	v_sub_f32_e32 v17, v17, v7
	v_add_f32_e32 v49, v54, v110
	v_dual_fmamk_f32 v54, v114, 0xbf737871, v33 :: v_dual_sub_f32 v105, v16, v4
	v_dual_add_f32 v16, v67, v16 :: v_dual_fmamk_f32 v67, v24, 0x3f737871, v14
	v_add_f32_e32 v110, v18, v8
	v_fmac_f32_e32 v14, 0xbf737871, v24
	v_dual_fmac_f32 v55, 0xbf167918, v45 :: v_dual_add_f32 v6, v6, v12
	s_delay_alu instid0(VALU_DEP_4) | instskip(NEXT) | instid1(VALU_DEP_3)
	v_dual_fmac_f32 v67, 0x3f167918, v25 :: v_dual_add_f32 v42, v58, v42
	v_fmac_f32_e32 v14, 0xbf167918, v25
	v_add_f32_e32 v25, v26, v13
	v_dual_fmac_f32 v99, 0x3f167918, v45 :: v_dual_sub_f32 v18, v18, v8
	v_fmamk_f32 v45, v117, 0x3f737871, v109
	v_fmac_f32_e32 v109, 0xbf737871, v117
	v_dual_fmac_f32 v33, 0x3f737871, v114 :: v_dual_fmamk_f32 v58, v112, 0x3f737871, v38
	v_fmac_f32_e32 v87, 0xbf167918, v24
	v_fmac_f32_e32 v38, 0xbf737871, v112
	v_dual_fmac_f32 v53, 0x3f167918, v24 :: v_dual_sub_f32 v24, v15, v9
	v_fmac_f32_e32 v45, 0x3f167918, v114
	v_fmac_f32_e32 v109, 0xbf167918, v114
	v_dual_fmamk_f32 v114, v107, 0xbf737871, v115 :: v_dual_add_f32 v25, v25, v15
	v_dual_add_f32 v15, v15, v9 :: v_dual_add_f32 v4, v16, v4
	v_dual_fmac_f32 v36, -0.5, v118 :: v_dual_fmac_f32 v115, 0x3f737871, v107
	v_fma_f32 v111, -0.5, v111, v35
	v_fma_f32 v35, -0.5, v110, v35
	s_delay_alu instid0(VALU_DEP_4)
	v_fma_f32 v110, -0.5, v15, v26
	v_fmac_f32_e32 v54, 0x3f167918, v117
	v_fmac_f32_e32 v114, 0xbf167918, v112
	;; [unrolled: 1-line block ×4, first 2 shown]
	v_dual_fmac_f32 v67, 0x3e9e377a, v22 :: v_dual_fmac_f32 v116, 0x3e9e377a, v37
	s_delay_alu instid0(VALU_DEP_4) | instskip(NEXT) | instid1(VALU_DEP_4)
	v_dual_fmac_f32 v53, 0x3e9e377a, v23 :: v_dual_fmac_f32 v114, 0x3e9e377a, v50
	v_dual_fmac_f32 v87, 0x3e9e377a, v23 :: v_dual_fmac_f32 v58, 0x3e9e377a, v56
	s_delay_alu instid0(VALU_DEP_4)
	v_dual_fmac_f32 v43, 0x3e9e377a, v37 :: v_dual_fmac_f32 v38, 0x3e9e377a, v56
	v_fmamk_f32 v37, v18, 0xbf737871, v110
	v_fmac_f32_e32 v110, 0x3f737871, v18
	v_fmamk_f32 v23, v64, 0xbf737871, v36
	v_fmac_f32_e32 v36, 0x3f737871, v64
	v_fmac_f32_e32 v115, 0x3f167918, v112
	v_sub_f32_e32 v112, v13, v0
	v_dual_fmac_f32 v110, 0x3f167918, v105 :: v_dual_add_f32 v13, v13, v0
	v_dual_fmamk_f32 v118, v40, 0xbf737871, v103 :: v_dual_sub_f32 v107, v1, v2
	s_delay_alu instid0(VALU_DEP_3)
	v_dual_fmamk_f32 v16, v112, 0x3f737871, v111 :: v_dual_add_f32 v5, v19, v5
	v_fmac_f32_e32 v14, 0x3e9e377a, v22
	v_fmamk_f32 v15, v113, 0xbf737871, v34
	v_fmac_f32_e32 v34, 0x3f737871, v113
	v_fmamk_f32 v22, v107, 0x3f737871, v106
	v_dual_fmac_f32 v33, 0xbf167918, v117 :: v_dual_fmac_f32 v118, 0xbf167918, v104
	v_fma_f32 v117, -0.5, v13, v26
	v_dual_add_f32 v9, v25, v9 :: v_dual_fmac_f32 v54, 0x3e9e377a, v47
	v_fmamk_f32 v13, v17, 0x3f737871, v62
	v_dual_fmac_f32 v34, 0xbf167918, v17 :: v_dual_add_f32 v7, v5, v7
	v_fmac_f32_e32 v55, 0x3e9e377a, v44
	v_add_f32_e32 v4, v4, v8
	v_fmac_f32_e32 v16, 0x3f167918, v24
	s_delay_alu instid0(VALU_DEP_4)
	v_dual_fmac_f32 v34, 0x3e9e377a, v65 :: v_dual_fmac_f32 v99, 0x3e9e377a, v44
	v_dual_fmamk_f32 v44, v105, 0x3f737871, v117 :: v_dual_add_f32 v5, v66, v48
	v_add_f32_e32 v8, v27, v1
	v_fmac_f32_e32 v62, 0xbf737871, v17
	v_dual_fmamk_f32 v119, v104, 0x3f737871, v39 :: v_dual_add_f32 v0, v9, v0
	v_fmac_f32_e32 v39, 0xbf737871, v104
	v_fmac_f32_e32 v111, 0xbf737871, v112
	v_sub_f32_e32 v9, v41, v11
	v_fmac_f32_e32 v117, 0xbf737871, v105
	v_dual_add_f32 v5, v5, v10 :: v_dual_add_f32 v8, v8, v3
	v_dual_sub_f32 v10, v48, v10 :: v_dual_fmac_f32 v15, 0x3f167918, v17
	v_add_f32_e32 v17, v3, v21
	v_dual_fmac_f32 v103, 0x3f737871, v40 :: v_dual_sub_f32 v12, v2, v21
	v_fmamk_f32 v19, v24, 0xbf737871, v35
	v_dual_fmac_f32 v35, 0x3f737871, v24 :: v_dual_add_f32 v8, v8, v21
	v_dual_fmac_f32 v119, 0xbf167918, v40 :: v_dual_fmac_f32 v44, 0xbf167918, v18
	v_fmac_f32_e32 v117, 0x3f167918, v18
	v_dual_add_f32 v18, v1, v2 :: v_dual_fmac_f32 v39, 0x3f167918, v40
	v_fma_f32 v40, -0.5, v17, v27
	v_fmac_f32_e32 v62, 0xbf167918, v113
	v_fmac_f32_e32 v45, 0x3e9e377a, v46
	v_dual_fmac_f32 v109, 0x3e9e377a, v46 :: v_dual_fmac_f32 v118, 0x3e9e377a, v100
	v_fmac_f32_e32 v27, -0.5, v18
	v_add_f32_e32 v41, v8, v2
	v_sub_f32_e32 v2, v21, v2
	v_fmamk_f32 v46, v9, 0xbf737871, v40
	v_dual_fmac_f32 v40, 0x3f737871, v9 :: v_dual_add_f32 v5, v5, v11
	v_sub_f32_e32 v11, v1, v3
	v_sub_f32_e32 v1, v3, v1
	v_and_b32_e32 v3, 0xffff, v90
	v_dual_fmac_f32 v13, 0x3f167918, v113 :: v_dual_fmac_f32 v22, 0x3f167918, v64
	v_fmac_f32_e32 v33, 0x3e9e377a, v47
	v_fmamk_f32 v47, v10, 0x3f737871, v27
	v_fmac_f32_e32 v27, 0xbf737871, v10
	v_dual_add_f32 v1, v1, v2 :: v_dual_lshlrev_b32 v2, 2, v92
	v_mad_u32_u24 v3, 0x104, v3, 0
	s_delay_alu instid0(VALU_DEP_4) | instskip(NEXT) | instid1(VALU_DEP_4)
	v_fmac_f32_e32 v47, 0xbf167918, v9
	v_fmac_f32_e32 v27, 0x3f167918, v9
	;; [unrolled: 1-line block ×3, first 2 shown]
	v_dual_fmac_f32 v103, 0x3f167918, v104 :: v_dual_lshlrev_b32 v8, 2, v97
	v_add3_u32 v48, v3, v2, v75
	v_and_b32_e32 v3, 0xffff, v93
	v_dual_fmac_f32 v47, 0x3e9e377a, v1 :: v_dual_lshlrev_b32 v2, 2, v96
	v_fmac_f32_e32 v27, 0x3e9e377a, v1
	v_fmac_f32_e32 v19, 0x3f167918, v112
	s_delay_alu instid0(VALU_DEP_4)
	v_mad_u32_u24 v1, 0x104, v3, 0
	v_mad_u32_u24 v3, 0x104, v95, 0
	v_dual_fmac_f32 v35, 0xbf167918, v112 :: v_dual_fmac_f32 v46, 0xbf167918, v10
	v_dual_fmac_f32 v111, 0xbf167918, v24 :: v_dual_fmac_f32 v36, 0xbf167918, v107
	v_fmac_f32_e32 v23, 0x3f167918, v107
	v_dual_fmac_f32 v13, 0x3e9e377a, v60 :: v_dual_fmac_f32 v44, 0x3e9e377a, v63
	v_add_f32_e32 v11, v11, v12
	v_lshlrev_b32_e32 v9, 2, v98
	v_add3_u32 v1, v1, v2, v75
	v_mad_u32_u24 v2, 0x104, v94, 0
	v_dual_fmac_f32 v37, 0xbf167918, v105 :: v_dual_fmac_f32 v106, 0xbf167918, v64
	v_fmac_f32_e32 v62, 0x3e9e377a, v60
	v_fmac_f32_e32 v40, 0x3f167918, v10
	v_dual_fmac_f32 v15, 0x3e9e377a, v65 :: v_dual_fmac_f32 v46, 0x3e9e377a, v11
	ds_store_2addr_b32 v52, v20, v67 offset1:13
	v_fmac_f32_e32 v16, 0x3e9e377a, v102
	ds_store_2addr_b32 v52, v53, v87 offset0:26 offset1:39
	ds_store_b32 v52, v14 offset:208
	ds_store_2addr_b32 v48, v49, v45 offset1:13
	v_add3_u32 v45, v3, v8, v75
	v_fmac_f32_e32 v19, 0x3e9e377a, v57
	v_fmac_f32_e32 v35, 0x3e9e377a, v57
	v_dual_fmac_f32 v111, 0x3e9e377a, v102 :: v_dual_fmac_f32 v22, 0x3e9e377a, v101
	v_fmac_f32_e32 v23, 0x3e9e377a, v61
	ds_store_2addr_b32 v48, v54, v33 offset0:26 offset1:39
	ds_store_b32 v48, v109 offset:208
	ds_store_2addr_b32 v1, v6, v13 offset1:13
	ds_store_2addr_b32 v1, v15, v34 offset0:26 offset1:39
	v_add3_u32 v6, v2, v9, v75
	v_dual_fmac_f32 v115, 0x3e9e377a, v50 :: v_dual_fmac_f32 v110, 0x3e9e377a, v59
	v_dual_fmac_f32 v103, 0x3e9e377a, v100 :: v_dual_fmac_f32 v106, 0x3e9e377a, v101
	;; [unrolled: 1-line block ×4, first 2 shown]
	ds_store_b32 v1, v62 offset:208
	ds_store_2addr_b32 v45, v4, v16 offset1:13
	ds_store_2addr_b32 v45, v19, v35 offset0:26 offset1:39
	ds_store_b32 v45, v111 offset:208
	ds_store_2addr_b32 v6, v5, v22 offset1:13
	ds_store_2addr_b32 v6, v23, v36 offset0:26 offset1:39
	ds_store_b32 v6, v106 offset:208
	global_wb scope:SCOPE_SE
	s_wait_dscnt 0x0
	s_barrier_signal -1
	s_barrier_wait -1
	global_inv scope:SCOPE_SE
	ds_load_b32 v26, v69
	ds_load_2addr_b32 v[34:35], v72 offset0:69 offset1:134
	ds_load_2addr_b32 v[18:19], v73 offset0:73 offset1:138
	;; [unrolled: 1-line block ×12, first 2 shown]
	global_wb scope:SCOPE_SE
	s_wait_dscnt 0x0
	s_barrier_signal -1
	s_barrier_wait -1
	global_inv scope:SCOPE_SE
	ds_store_2addr_b32 v52, v51, v116 offset1:13
	ds_store_2addr_b32 v52, v55, v99 offset0:26 offset1:39
	ds_store_b32 v52, v43 offset:208
	ds_store_2addr_b32 v48, v42, v114 offset1:13
	ds_store_2addr_b32 v48, v58, v38 offset0:26 offset1:39
	ds_store_b32 v48, v115 offset:208
	ds_store_2addr_b32 v1, v7, v118 offset1:13
	v_mul_lo_u16 v7, 0xfd, v89
	v_fmac_f32_e32 v37, 0x3e9e377a, v59
	v_fmac_f32_e32 v117, 0x3e9e377a, v63
	v_mov_b32_e32 v33, 0
	ds_store_2addr_b32 v1, v119, v39 offset0:26 offset1:39
	v_lshrrev_b16 v7, 14, v7
	ds_store_b32 v1, v103 offset:208
	ds_store_2addr_b32 v45, v0, v37 offset1:13
	ds_store_2addr_b32 v45, v44, v117 offset0:26 offset1:39
	ds_store_b32 v45, v110 offset:208
	ds_store_2addr_b32 v6, v41, v46 offset1:13
	ds_store_2addr_b32 v6, v47, v27 offset0:26 offset1:39
	ds_store_b32 v6, v40 offset:208
	v_lshlrev_b64_e32 v[0:1], 3, v[32:33]
	v_mul_u32_u24_e32 v32, 0xfc1, v91
	v_mul_lo_u16 v6, 0x41, v7
	v_mul_u32_u24_e32 v7, 0xfc1, v88
	global_wb scope:SCOPE_SE
	s_wait_dscnt 0x0
	s_barrier_signal -1
	v_add_co_u32 v0, s0, s8, v0
	v_sub_nc_u16 v6, v84, v6
	v_lshrrev_b32_e32 v7, 18, v7
	s_wait_alu 0xf1ff
	v_add_co_ci_u32_e64 v1, s0, s9, v1, s0
	s_barrier_wait -1
	v_and_b32_e32 v27, 0xff, v6
	v_lshrrev_b32_e32 v6, 18, v32
	v_mul_lo_u16 v7, 0x41, v7
	global_inv scope:SCOPE_SE
	global_load_b128 v[38:41], v[0:1], off offset:416
	v_lshlrev_b32_e32 v37, 5, v27
	v_mul_lo_u16 v6, 0x41, v6
	v_sub_nc_u16 v7, v85, v7
	global_load_b128 v[42:45], v37, s[8:9] offset:416
	v_sub_nc_u16 v6, v86, v6
	v_and_b32_e32 v32, 0xffff, v7
	s_delay_alu instid0(VALU_DEP_2) | instskip(NEXT) | instid1(VALU_DEP_2)
	v_and_b32_e32 v36, 0xffff, v6
	v_lshlrev_b32_e32 v7, 5, v32
	s_delay_alu instid0(VALU_DEP_2)
	v_lshlrev_b32_e32 v6, 5, v36
	s_clause 0x5
	global_load_b128 v[46:49], v7, s[8:9] offset:416
	global_load_b128 v[50:53], v6, s[8:9] offset:416
	global_load_b128 v[54:57], v[0:1], off offset:432
	global_load_b128 v[58:61], v37, s[8:9] offset:432
	global_load_b128 v[62:65], v7, s[8:9] offset:432
	global_load_b128 v[87:90], v6, s[8:9] offset:432
	ds_load_2addr_b32 v[66:67], v72 offset0:69 offset1:134
	ds_load_2addr_b32 v[91:92], v73 offset0:73 offset1:138
	;; [unrolled: 1-line block ×10, first 2 shown]
	ds_load_b32 v37, v69
	ds_load_2addr_b32 v[6:7], v70 offset0:65 offset1:130
	s_wait_loadcnt_dscnt 0x709
	v_dual_mul_f32 v111, v34, v39 :: v_dual_mul_f32 v114, v93, v41
	v_mul_f32_e32 v112, v92, v41
	s_delay_alu instid0(VALU_DEP_2) | instskip(SKIP_2) | instid1(VALU_DEP_1)
	v_dual_mul_f32 v110, v67, v39 :: v_dual_fmac_f32 v111, v66, v38
	s_wait_loadcnt 0x6
	v_dual_mul_f32 v113, v19, v41 :: v_dual_mul_f32 v116, v22, v43
	v_fmac_f32_e32 v113, v92, v40
	v_mul_f32_e32 v109, v66, v39
	v_fma_f32 v66, v24, v40, -v114
	s_wait_dscnt 0x8
	v_dual_mul_f32 v41, v24, v41 :: v_dual_fmac_f32 v116, v95, v42
	s_delay_alu instid0(VALU_DEP_3) | instskip(SKIP_1) | instid1(VALU_DEP_2)
	v_fma_f32 v109, v34, v38, -v109
	s_wait_loadcnt 0x5
	v_dual_mul_f32 v34, v23, v47 :: v_dual_fmac_f32 v41, v93, v40
	s_wait_loadcnt 0x3
	v_mul_f32_e32 v93, v9, v57
	s_wait_dscnt 0x5
	v_mul_f32_e32 v92, v102, v57
	v_mul_f32_e32 v24, v21, v53
	s_delay_alu instid0(VALU_DEP_3) | instskip(SKIP_3) | instid1(VALU_DEP_3)
	v_dual_fmac_f32 v34, v96, v46 :: v_dual_fmac_f32 v93, v102, v56
	v_mul_f32_e32 v39, v35, v39
	v_fma_f32 v35, v35, v38, -v110
	v_mul_f32_e32 v110, v95, v43
	v_dual_fmac_f32 v24, v98, v52 :: v_dual_fmac_f32 v39, v67, v38
	v_mul_f32_e32 v38, v96, v47
	s_delay_alu instid0(VALU_DEP_3)
	v_fma_f32 v67, v22, v42, -v110
	v_mul_f32_e32 v42, v16, v55
	v_fma_f32 v47, v19, v40, -v112
	v_mul_f32_e32 v40, v97, v49
	v_fma_f32 v23, v23, v46, -v38
	s_wait_dscnt 0x4
	v_mul_f32_e32 v38, v103, v57
	s_wait_loadcnt 0x2
	v_mul_f32_e32 v46, v104, v61
	v_mul_f32_e32 v61, v15, v61
	v_dual_fmac_f32 v42, v99, v54 :: v_dual_mul_f32 v43, v20, v49
	v_mul_f32_e32 v49, v91, v51
	s_delay_alu instid0(VALU_DEP_4)
	v_fma_f32 v15, v15, v60, -v46
	v_mul_f32_e32 v57, v14, v57
	v_fma_f32 v14, v14, v56, -v38
	v_mul_f32_e32 v115, v94, v45
	v_dual_fmac_f32 v61, v104, v60 :: v_dual_sub_f32 v60, v42, v93
	v_mul_f32_e32 v45, v25, v45
	v_dual_fmac_f32 v43, v97, v48 :: v_dual_add_f32 v114, v67, v15
	s_delay_alu instid0(VALU_DEP_4) | instskip(NEXT) | instid1(VALU_DEP_3)
	v_fma_f32 v25, v25, v44, -v115
	v_dual_sub_f32 v110, v116, v61 :: v_dual_fmac_f32 v45, v94, v44
	v_fma_f32 v94, v20, v48, -v40
	s_wait_dscnt 0x3
	v_mul_f32_e32 v40, v105, v59
	v_mul_f32_e32 v44, v99, v55
	;; [unrolled: 1-line block ×3, first 2 shown]
	s_wait_loadcnt 0x0
	v_dual_mul_f32 v59, v106, v63 :: v_dual_mul_f32 v20, v8, v88
	v_fma_f32 v12, v12, v58, -v40
	v_fma_f32 v16, v16, v54, -v44
	v_fma_f32 v44, v9, v56, -v92
	v_fmac_f32_e32 v48, v105, v58
	v_fmac_f32_e32 v20, v101, v87
	v_sub_f32_e32 v112, v15, v12
	v_fmac_f32_e32 v57, v103, v56
	v_mul_f32_e32 v19, v18, v51
	v_mul_f32_e32 v51, v98, v53
	;; [unrolled: 1-line block ×4, first 2 shown]
	v_sub_f32_e32 v56, v93, v42
	v_dual_mul_f32 v63, v13, v63 :: v_dual_add_f32 v38, v47, v16
	v_sub_f32_e32 v103, v109, v44
	s_delay_alu instid0(VALU_DEP_4) | instskip(SKIP_1) | instid1(VALU_DEP_4)
	v_fmac_f32_e32 v55, v100, v54
	v_sub_f32_e32 v97, v47, v16
	v_fmac_f32_e32 v63, v106, v62
	v_sub_f32_e32 v106, v35, v14
	v_fma_f32 v17, v17, v54, -v53
	v_sub_f32_e32 v92, v55, v57
	v_fmac_f32_e32 v19, v91, v50
	v_fma_f32 v115, -0.5, v38, v26
	v_sub_f32_e32 v40, v109, v47
	v_add_f32_e32 v98, v66, v17
	v_fma_f32 v22, v18, v50, -v49
	s_wait_dscnt 0x2
	v_dual_mul_f32 v50, v101, v88 :: v_dual_mul_f32 v49, v107, v65
	v_sub_f32_e32 v88, v17, v14
	v_dual_mul_f32 v18, v11, v90 :: v_dual_sub_f32 v99, v66, v17
	s_delay_alu instid0(VALU_DEP_3)
	v_fma_f32 v8, v8, v87, -v50
	v_sub_f32_e32 v87, v66, v35
	v_mul_f32_e32 v65, v10, v65
	v_fma_f32 v10, v10, v64, -v49
	v_sub_f32_e32 v46, v44, v16
	v_dual_sub_f32 v50, v47, v109 :: v_dual_add_f32 v95, v2, v35
	s_delay_alu instid0(VALU_DEP_4)
	v_dual_fmac_f32 v65, v107, v64 :: v_dual_sub_f32 v64, v14, v17
	v_add_f32_e32 v102, v41, v55
	v_fma_f32 v21, v21, v52, -v51
	v_sub_f32_e32 v91, v41, v39
	v_dual_mul_f32 v51, v108, v90 :: v_dual_sub_f32 v90, v57, v55
	s_wait_dscnt 0x0
	v_fma_f32 v38, -0.5, v102, v6
	v_dual_add_f32 v49, v109, v44 :: v_dual_add_f32 v58, v111, v93
	s_delay_alu instid0(VALU_DEP_3)
	v_fma_f32 v9, v11, v89, -v51
	v_add_f32_e32 v11, v26, v109
	v_add_f32_e32 v53, v113, v42
	v_sub_f32_e32 v96, v113, v42
	v_fmac_f32_e32 v26, -0.5, v49
	v_fma_f32 v13, v13, v62, -v59
	v_sub_f32_e32 v62, v35, v66
	v_dual_add_f32 v52, v37, v111 :: v_dual_add_f32 v105, v35, v14
	v_fma_f32 v35, -0.5, v53, v37
	s_delay_alu instid0(VALU_DEP_3) | instskip(SKIP_4) | instid1(VALU_DEP_2)
	v_dual_fmac_f32 v18, v108, v89 :: v_dual_add_f32 v53, v62, v64
	v_dual_fmamk_f32 v62, v96, 0xbf737871, v26 :: v_dual_sub_f32 v59, v113, v111
	v_dual_fmac_f32 v26, 0x3f737871, v96 :: v_dual_sub_f32 v101, v41, v55
	v_dual_sub_f32 v51, v16, v44 :: v_dual_add_f32 v108, v3, v67
	v_dual_add_f32 v46, v40, v46 :: v_dual_add_f32 v11, v11, v47
	v_dual_add_f32 v40, v52, v113 :: v_dual_add_f32 v49, v50, v51
	v_add_f32_e32 v51, v59, v60
	v_fma_f32 v59, -0.5, v105, v2
	v_add_f32_e32 v60, v108, v25
	v_sub_f32_e32 v104, v111, v93
	v_add_f32_e32 v47, v95, v66
	v_dual_add_f32 v11, v11, v16 :: v_dual_add_f32 v16, v40, v42
	v_dual_sub_f32 v107, v39, v57 :: v_dual_fmamk_f32 v66, v101, 0xbf737871, v59
	v_add_f32_e32 v100, v6, v39
	v_sub_f32_e32 v54, v111, v113
	v_fma_f32 v52, -0.5, v98, v2
	v_fmac_f32_e32 v26, 0xbf167918, v104
	v_dual_fmac_f32 v66, 0x3f167918, v107 :: v_dual_sub_f32 v89, v39, v41
	s_delay_alu instid0(VALU_DEP_4) | instskip(SKIP_3) | instid1(VALU_DEP_4)
	v_dual_add_f32 v39, v39, v57 :: v_dual_add_f32 v50, v54, v56
	v_add_f32_e32 v54, v87, v88
	v_add_f32_e32 v88, v16, v93
	v_sub_f32_e32 v16, v45, v48
	v_fma_f32 v6, -0.5, v39, v6
	v_dual_add_f32 v17, v47, v17 :: v_dual_fmac_f32 v62, 0x3f167918, v104
	v_fmac_f32_e32 v66, 0x3e9e377a, v54
	s_delay_alu instid0(VALU_DEP_3) | instskip(SKIP_2) | instid1(VALU_DEP_3)
	v_fmamk_f32 v42, v99, 0x3f737871, v6
	v_fmac_f32_e32 v6, 0xbf737871, v99
	v_add_f32_e32 v56, v89, v90
	v_dual_fmac_f32 v42, 0xbf167918, v106 :: v_dual_add_f32 v41, v100, v41
	s_delay_alu instid0(VALU_DEP_3) | instskip(SKIP_1) | instid1(VALU_DEP_3)
	v_fmac_f32_e32 v6, 0x3f167918, v106
	v_fmac_f32_e32 v59, 0x3f737871, v101
	v_add_f32_e32 v47, v41, v55
	v_fmamk_f32 v41, v106, 0xbf737871, v38
	v_fmac_f32_e32 v38, 0x3f737871, v106
	s_delay_alu instid0(VALU_DEP_1) | instskip(SKIP_2) | instid1(VALU_DEP_3)
	v_fmac_f32_e32 v38, 0x3f167918, v99
	v_fmamk_f32 v64, v107, 0x3f737871, v52
	v_fmac_f32_e32 v52, 0xbf737871, v107
	v_fmac_f32_e32 v38, 0x3e9e377a, v56
	s_delay_alu instid0(VALU_DEP_3) | instskip(NEXT) | instid1(VALU_DEP_3)
	v_fmac_f32_e32 v64, 0x3f167918, v101
	v_fmac_f32_e32 v52, 0xbf167918, v101
	v_fmamk_f32 v39, v103, 0xbf737871, v35
	s_delay_alu instid0(VALU_DEP_3) | instskip(SKIP_3) | instid1(VALU_DEP_4)
	v_dual_fmac_f32 v64, 0x3e9e377a, v53 :: v_dual_add_f32 v109, v25, v12
	v_dual_fmac_f32 v62, 0x3e9e377a, v49 :: v_dual_fmac_f32 v37, -0.5, v58
	v_fmac_f32_e32 v26, 0x3e9e377a, v49
	v_fmac_f32_e32 v52, 0x3e9e377a, v53
	v_fma_f32 v2, -0.5, v109, v3
	v_add_f32_e32 v58, v91, v92
	v_dual_fmamk_f32 v40, v97, 0x3f737871, v37 :: v_dual_sub_f32 v49, v12, v15
	v_fmamk_f32 v55, v104, 0x3f737871, v115
	s_delay_alu instid0(VALU_DEP_4) | instskip(SKIP_1) | instid1(VALU_DEP_4)
	v_fmamk_f32 v87, v110, 0x3f737871, v2
	v_fmac_f32_e32 v2, 0xbf737871, v110
	v_dual_fmac_f32 v40, 0xbf167918, v103 :: v_dual_sub_f32 v111, v67, v25
	v_fmac_f32_e32 v115, 0xbf737871, v104
	v_dual_add_f32 v11, v11, v44 :: v_dual_fmac_f32 v6, 0x3e9e377a, v58
	s_delay_alu instid0(VALU_DEP_4) | instskip(NEXT) | instid1(VALU_DEP_4)
	v_dual_fmac_f32 v39, 0xbf167918, v97 :: v_dual_fmac_f32 v2, 0xbf167918, v16
	v_fmac_f32_e32 v40, 0x3e9e377a, v51
	v_add_f32_e32 v44, v111, v112
	v_fmac_f32_e32 v87, 0x3f167918, v16
	v_fmac_f32_e32 v55, 0x3f167918, v96
	v_add_f32_e32 v47, v47, v57
	v_sub_f32_e32 v53, v61, v48
	v_fmac_f32_e32 v2, 0x3e9e377a, v44
	v_dual_fmac_f32 v87, 0x3e9e377a, v44 :: v_dual_add_f32 v44, v116, v61
	v_fmac_f32_e32 v115, 0xbf167918, v96
	v_fmac_f32_e32 v55, 0x3e9e377a, v46
	v_sub_f32_e32 v57, v10, v13
	v_fmac_f32_e32 v37, 0xbf737871, v97
	v_fmac_f32_e32 v3, -0.5, v114
	v_dual_fmac_f32 v115, 0x3e9e377a, v46 :: v_dual_sub_f32 v46, v25, v67
	v_add_f32_e32 v14, v17, v14
	v_fmac_f32_e32 v39, 0x3e9e377a, v50
	v_add_f32_e32 v17, v60, v12
	v_sub_f32_e32 v12, v25, v12
	v_dual_add_f32 v46, v46, v49 :: v_dual_add_f32 v49, v7, v116
	v_fmac_f32_e32 v37, 0x3f167918, v103
	v_sub_f32_e32 v25, v116, v45
	v_add_f32_e32 v17, v17, v15
	v_sub_f32_e32 v15, v67, v15
	v_add_f32_e32 v49, v49, v45
	v_fmac_f32_e32 v35, 0x3f737871, v103
	v_fmac_f32_e32 v42, 0x3e9e377a, v58
	s_delay_alu instid0(VALU_DEP_2) | instskip(NEXT) | instid1(VALU_DEP_1)
	v_dual_add_f32 v58, v23, v10 :: v_dual_fmac_f32 v35, 0x3f167918, v97
	v_fmac_f32_e32 v35, 0x3e9e377a, v50
	v_fmamk_f32 v50, v16, 0xbf737871, v3
	v_fmac_f32_e32 v3, 0x3f737871, v16
	v_dual_add_f32 v16, v45, v48 :: v_dual_fmac_f32 v41, 0xbf167918, v99
	s_delay_alu instid0(VALU_DEP_3) | instskip(SKIP_1) | instid1(VALU_DEP_3)
	v_fmac_f32_e32 v50, 0x3f167918, v110
	v_fmac_f32_e32 v37, 0x3e9e377a, v51
	v_fma_f32 v51, -0.5, v16, v7
	v_dual_fmac_f32 v3, 0xbf167918, v110 :: v_dual_add_f32 v16, v49, v48
	s_delay_alu instid0(VALU_DEP_4) | instskip(NEXT) | instid1(VALU_DEP_2)
	v_dual_fmac_f32 v50, 0x3e9e377a, v46 :: v_dual_fmac_f32 v7, -0.5, v44
	v_dual_sub_f32 v44, v48, v61 :: v_dual_fmac_f32 v3, 0x3e9e377a, v46
	s_delay_alu instid0(VALU_DEP_3)
	v_add_f32_e32 v46, v16, v61
	v_dual_add_f32 v16, v25, v53 :: v_dual_sub_f32 v61, v24, v20
	v_sub_f32_e32 v25, v45, v116
	v_fmamk_f32 v49, v15, 0xbf737871, v51
	v_fmac_f32_e32 v51, 0x3f737871, v15
	v_add_f32_e32 v45, v94, v13
	v_fmamk_f32 v53, v12, 0x3f737871, v7
	v_dual_add_f32 v25, v25, v44 :: v_dual_add_f32 v44, v4, v23
	v_fmac_f32_e32 v49, 0xbf167918, v12
	v_fmac_f32_e32 v51, 0x3f167918, v12
	v_fma_f32 v48, -0.5, v45, v4
	s_delay_alu instid0(VALU_DEP_4)
	v_dual_fmac_f32 v7, 0xbf737871, v12 :: v_dual_add_f32 v12, v44, v94
	ds_load_2addr_b32 v[44:45], v81 offset0:67 offset1:132
	v_fmac_f32_e32 v59, 0xbf167918, v107
	v_fmac_f32_e32 v41, 0x3e9e377a, v56
	v_dual_fmac_f32 v53, 0xbf167918, v15 :: v_dual_sub_f32 v56, v23, v94
	v_fmac_f32_e32 v7, 0x3f167918, v15
	s_delay_alu instid0(VALU_DEP_4) | instskip(SKIP_3) | instid1(VALU_DEP_4)
	v_dual_fmac_f32 v59, 0x3e9e377a, v54 :: v_dual_sub_f32 v54, v34, v65
	v_fmac_f32_e32 v49, 0x3e9e377a, v16
	v_fmac_f32_e32 v51, 0x3e9e377a, v16
	;; [unrolled: 1-line block ×3, first 2 shown]
	v_dual_sub_f32 v15, v43, v63 :: v_dual_fmamk_f32 v16, v54, 0x3f737871, v48
	v_add_f32_e32 v12, v12, v13
	v_add_f32_e32 v56, v56, v57
	v_fmac_f32_e32 v7, 0x3e9e377a, v25
	v_sub_f32_e32 v25, v94, v23
	v_sub_f32_e32 v57, v13, v10
	v_fma_f32 v4, -0.5, v58, v4
	v_fmac_f32_e32 v48, 0xbf737871, v54
	v_fmac_f32_e32 v16, 0x3f167918, v15
	s_delay_alu instid0(VALU_DEP_4) | instskip(NEXT) | instid1(VALU_DEP_4)
	v_dual_add_f32 v12, v12, v10 :: v_dual_add_f32 v25, v25, v57
	v_fmamk_f32 v57, v15, 0xbf737871, v4
	s_delay_alu instid0(VALU_DEP_4)
	v_fmac_f32_e32 v48, 0xbf167918, v15
	v_fmac_f32_e32 v4, 0x3f737871, v15
	v_sub_f32_e32 v10, v23, v10
	s_wait_dscnt 0x0
	v_add_f32_e32 v15, v44, v34
	v_dual_add_f32 v23, v43, v63 :: v_dual_fmac_f32 v16, 0x3e9e377a, v56
	v_fmac_f32_e32 v57, 0x3f167918, v54
	v_fmac_f32_e32 v48, 0x3e9e377a, v56
	;; [unrolled: 1-line block ×3, first 2 shown]
	v_sub_f32_e32 v54, v34, v43
	v_sub_f32_e32 v56, v65, v63
	v_fma_f32 v58, -0.5, v23, v44
	v_add_f32_e32 v15, v15, v43
	v_fmac_f32_e32 v57, 0x3e9e377a, v25
	v_sub_f32_e32 v13, v94, v13
	v_fmac_f32_e32 v4, 0x3e9e377a, v25
	v_add_f32_e32 v23, v34, v65
	v_add_f32_e32 v25, v54, v56
	v_dual_fmamk_f32 v54, v10, 0xbf737871, v58 :: v_dual_add_f32 v15, v15, v63
	v_fmac_f32_e32 v58, 0x3f737871, v10
	v_sub_f32_e32 v34, v43, v34
	v_fma_f32 v43, -0.5, v23, v44
	s_delay_alu instid0(VALU_DEP_4) | instskip(SKIP_2) | instid1(VALU_DEP_4)
	v_fmac_f32_e32 v54, 0xbf167918, v13
	v_add_f32_e32 v44, v15, v65
	v_dual_fmac_f32 v58, 0x3f167918, v13 :: v_dual_add_f32 v15, v21, v8
	v_dual_sub_f32 v23, v63, v65 :: v_dual_fmamk_f32 v56, v13, 0x3f737871, v43
	s_delay_alu instid0(VALU_DEP_4) | instskip(SKIP_1) | instid1(VALU_DEP_4)
	v_fmac_f32_e32 v54, 0x3e9e377a, v25
	v_fmac_f32_e32 v43, 0xbf737871, v13
	;; [unrolled: 1-line block ×3, first 2 shown]
	v_fma_f32 v15, -0.5, v15, v5
	v_sub_f32_e32 v25, v19, v18
	v_add_f32_e32 v23, v34, v23
	v_dual_sub_f32 v13, v22, v21 :: v_dual_sub_f32 v34, v9, v8
	v_fmac_f32_e32 v56, 0xbf167918, v10
	v_dual_fmac_f32 v43, 0x3f167918, v10 :: v_dual_add_f32 v10, v22, v9
	v_fmamk_f32 v60, v25, 0x3f737871, v15
	v_fmac_f32_e32 v15, 0xbf737871, v25
	v_add_f32_e32 v63, v5, v22
	v_add_f32_e32 v13, v13, v34
	s_delay_alu instid0(VALU_DEP_4) | instskip(NEXT) | instid1(VALU_DEP_4)
	v_dual_fmac_f32 v5, -0.5, v10 :: v_dual_fmac_f32 v60, 0x3f167918, v61
	v_fmac_f32_e32 v15, 0xbf167918, v61
	s_delay_alu instid0(VALU_DEP_4) | instskip(SKIP_1) | instid1(VALU_DEP_4)
	v_add_f32_e32 v10, v63, v21
	v_fmac_f32_e32 v56, 0x3e9e377a, v23
	v_dual_fmac_f32 v43, 0x3e9e377a, v23 :: v_dual_fmac_f32 v60, 0x3e9e377a, v13
	s_delay_alu instid0(VALU_DEP_3) | instskip(SKIP_3) | instid1(VALU_DEP_4)
	v_dual_fmac_f32 v15, 0x3e9e377a, v13 :: v_dual_add_f32 v10, v10, v8
	v_sub_f32_e32 v13, v21, v22
	v_dual_sub_f32 v23, v8, v9 :: v_dual_fmamk_f32 v34, v61, 0xbf737871, v5
	v_fmac_f32_e32 v5, 0x3f737871, v61
	v_add_f32_e32 v10, v10, v9
	v_sub_f32_e32 v9, v22, v9
	s_delay_alu instid0(VALU_DEP_4) | instskip(NEXT) | instid1(VALU_DEP_4)
	v_dual_add_f32 v13, v13, v23 :: v_dual_fmac_f32 v34, 0x3f167918, v25
	v_dual_fmac_f32 v5, 0xbf167918, v25 :: v_dual_add_f32 v22, v24, v20
	v_sub_f32_e32 v8, v21, v8
	s_delay_alu instid0(VALU_DEP_3) | instskip(NEXT) | instid1(VALU_DEP_3)
	v_dual_add_f32 v21, v45, v19 :: v_dual_fmac_f32 v34, 0x3e9e377a, v13
	v_fmac_f32_e32 v5, 0x3e9e377a, v13
	s_delay_alu instid0(VALU_DEP_4) | instskip(SKIP_1) | instid1(VALU_DEP_4)
	v_fma_f32 v61, -0.5, v22, v45
	v_add_f32_e32 v13, v19, v18
	v_add_f32_e32 v21, v21, v24
	v_sub_f32_e32 v22, v19, v24
	v_sub_f32_e32 v23, v18, v20
	v_fmamk_f32 v63, v9, 0xbf737871, v61
	v_fmac_f32_e32 v45, -0.5, v13
	v_fmac_f32_e32 v61, 0x3f737871, v9
	v_sub_f32_e32 v13, v24, v19
	v_add_f32_e32 v19, v22, v23
	v_fmac_f32_e32 v63, 0xbf167918, v8
	v_fmamk_f32 v65, v8, 0x3f737871, v45
	v_fmac_f32_e32 v45, 0xbf737871, v8
	v_fmac_f32_e32 v61, 0x3f167918, v8
	v_dual_add_f32 v8, v21, v20 :: v_dual_lshlrev_b32 v21, 2, v27
	v_lshlrev_b32_e32 v22, 2, v32
	v_dual_sub_f32 v20, v20, v18 :: v_dual_lshlrev_b32 v23, 2, v36
	global_wb scope:SCOPE_SE
	v_add3_u32 v36, 0, v21, v75
	s_barrier_signal -1
	s_barrier_wait -1
	global_inv scope:SCOPE_SE
	ds_store_2addr_b32 v70, v11, v55 offset1:65
	ds_store_2addr_b32 v70, v62, v26 offset0:130 offset1:195
	ds_store_2addr_b32 v72, v115, v14 offset0:4 offset1:69
	v_add3_u32 v55, 0, v22, v75
	ds_store_2addr_b32 v73, v59, v52 offset0:8 offset1:73
	v_add3_u32 v52, 0, v23, v75
	v_fmac_f32_e32 v65, 0xbf167918, v9
	v_add_f32_e32 v13, v13, v20
	v_fmac_f32_e32 v45, 0x3f167918, v9
	v_add_nc_u32_e32 v59, 0x800, v36
	v_add_nc_u32_e32 v62, 0xc00, v36
	ds_store_2addr_b32 v72, v64, v66 offset0:134 offset1:199
	v_add_nc_u32_e32 v66, 0x1000, v55
	v_add_nc_u32_e32 v64, 0xe00, v55
	v_dual_add_f32 v32, v8, v18 :: v_dual_add_nc_u32 v67, 0x1400, v52
	v_fmac_f32_e32 v63, 0x3e9e377a, v19
	v_fmac_f32_e32 v61, 0x3e9e377a, v19
	;; [unrolled: 1-line block ×4, first 2 shown]
	ds_store_2addr_b32 v59, v17, v87 offset0:138 offset1:203
	ds_store_2addr_b32 v62, v50, v3 offset0:12 offset1:77
	;; [unrolled: 1-line block ×6, first 2 shown]
	ds_store_b32 v36, v2 offset:3640
	ds_store_b32 v55, v48 offset:4940
	;; [unrolled: 1-line block ×3, first 2 shown]
	global_wb scope:SCOPE_SE
	s_wait_dscnt 0x0
	s_barrier_signal -1
	s_barrier_wait -1
	global_inv scope:SCOPE_SE
	ds_load_b32 v34, v69
	ds_load_2addr_b32 v[10:11], v72 offset0:69 offset1:134
	ds_load_2addr_b32 v[26:27], v73 offset0:73 offset1:138
	;; [unrolled: 1-line block ×12, first 2 shown]
	global_wb scope:SCOPE_SE
	s_wait_dscnt 0x0
	s_barrier_signal -1
	s_barrier_wait -1
	global_inv scope:SCOPE_SE
	ds_store_2addr_b32 v70, v88, v39 offset1:65
	ds_store_2addr_b32 v70, v40, v37 offset0:130 offset1:195
	ds_store_2addr_b32 v72, v35, v47 offset0:4 offset1:69
	;; [unrolled: 1-line block ×10, first 2 shown]
	ds_store_b32 v36, v51 offset:3640
	ds_store_b32 v55, v58 offset:4940
	;; [unrolled: 1-line block ×3, first 2 shown]
	global_wb scope:SCOPE_SE
	s_wait_dscnt 0x0
	s_barrier_signal -1
	s_barrier_wait -1
	global_inv scope:SCOPE_SE
	s_and_saveexec_b32 s0, vcc_lo
	s_cbranch_execz .LBB0_21
; %bb.20:
	s_clause 0x1
	global_load_b128 v[35:38], v[0:1], off offset:2496
	global_load_b128 v[39:42], v[0:1], off offset:2512
	v_lshlrev_b32_e32 v32, 2, v86
	v_add_nc_u32_e32 v7, 0xe00, v70
	v_mad_co_u64_u32 v[79:80], null, s2, v30, 0
	v_add_nc_u32_e32 v6, 0x1200, v70
	v_mul_lo_u32 v67, s2, v31
	s_wait_loadcnt 0x1
	v_mul_f32_e32 v99, v27, v38
	s_wait_loadcnt 0x0
	v_mul_f32_e32 v101, v4, v40
	v_lshlrev_b64_e32 v[0:1], 3, v[32:33]
	v_lshlrev_b32_e32 v32, 2, v85
	v_dual_mul_f32 v98, v10, v36 :: v_dual_add_nc_u32 v85, 0xc00, v70
	s_delay_alu instid0(VALU_DEP_3) | instskip(SKIP_1) | instid1(VALU_DEP_4)
	v_add_co_u32 v0, vcc_lo, s8, v0
	s_wait_alu 0xfffd
	v_add_co_ci_u32_e32 v1, vcc_lo, s9, v1, vcc_lo
	s_clause 0x1
	global_load_b128 v[43:46], v[0:1], off offset:2496
	global_load_b128 v[47:50], v[0:1], off offset:2512
	v_lshlrev_b64_e32 v[0:1], 3, v[32:33]
	v_lshlrev_b32_e32 v32, 2, v84
	s_delay_alu instid0(VALU_DEP_2) | instskip(SKIP_1) | instid1(VALU_DEP_3)
	v_add_co_u32 v0, vcc_lo, s8, v0
	s_wait_alu 0xfffd
	v_add_co_ci_u32_e32 v1, vcc_lo, s9, v1, vcc_lo
	s_clause 0x1
	global_load_b128 v[51:54], v[0:1], off offset:2496
	global_load_b128 v[55:58], v[0:1], off offset:2512
	v_lshlrev_b64_e32 v[0:1], 3, v[32:33]
	v_lshlrev_b32_e32 v32, 2, v71
	s_delay_alu instid0(VALU_DEP_2) | instskip(SKIP_1) | instid1(VALU_DEP_3)
	v_add_co_u32 v0, vcc_lo, s8, v0
	s_wait_alu 0xfffd
	v_add_co_ci_u32_e32 v1, vcc_lo, s9, v1, vcc_lo
	s_clause 0x1
	global_load_b128 v[59:62], v[0:1], off offset:2496
	global_load_b128 v[63:66], v[0:1], off offset:2512
	v_lshlrev_b64_e32 v[0:1], 3, v[32:33]
	v_mul_lo_u32 v32, s3, v30
	v_add_nc_u32_e32 v30, 0x400, v70
	s_delay_alu instid0(VALU_DEP_3) | instskip(SKIP_1) | instid1(VALU_DEP_4)
	v_add_co_u32 v0, vcc_lo, s8, v0
	s_wait_alu 0xfffd
	v_add_co_ci_u32_e32 v1, vcc_lo, s9, v1, vcc_lo
	s_clause 0x1
	global_load_b128 v[71:74], v[0:1], off offset:2496
	global_load_b128 v[75:78], v[0:1], off offset:2512
	v_add_nc_u32_e32 v0, 0x800, v70
	ds_load_2addr_b32 v[0:1], v0 offset0:73 offset1:138
	ds_load_2addr_b32 v[81:82], v7 offset0:79 offset1:144
	;; [unrolled: 1-line block ×4, first 2 shown]
	v_mul_f32_e32 v100, v25, v42
	v_add_nc_u32_e32 v89, 0x600, v70
	v_add_nc_u32_e32 v91, 0x1000, v70
	;; [unrolled: 1-line block ×3, first 2 shown]
	v_add3_u32 v80, v80, v67, v32
	s_wait_dscnt 0x3
	v_fmac_f32_e32 v99, v1, v37
	s_wait_dscnt 0x2
	v_mul_f32_e32 v40, v81, v40
	s_wait_dscnt 0x1
	v_mul_f32_e32 v36, v83, v36
	v_fmac_f32_e32 v98, v83, v35
	s_wait_dscnt 0x0
	v_fmac_f32_e32 v100, v7, v41
	v_dual_mul_f32 v42, v7, v42 :: v_dual_fmac_f32 v101, v81, v39
	v_fma_f32 v81, v4, v39, -v40
	s_delay_alu instid0(VALU_DEP_3) | instskip(NEXT) | instid1(VALU_DEP_3)
	v_dual_add_f32 v109, v98, v100 :: v_dual_add_nc_u32 v86, 0x1600, v70
	v_fma_f32 v102, v25, v41, -v42
	v_dual_sub_f32 v32, v98, v99 :: v_dual_add_nc_u32 v93, 0xa00, v70
	v_add_nc_u32_e32 v95, 0x1400, v70
	v_dual_mul_f32 v38, v1, v38 :: v_dual_sub_f32 v107, v98, v100
	v_add_f32_e32 v1, v99, v101
	v_sub_f32_e32 v106, v102, v81
	ds_load_2addr_b32 v[30:31], v70 offset0:65 offset1:130
	ds_load_b32 v97, v69
	ds_load_2addr_b32 v[69:70], v85 offset0:77 offset1:142
	ds_load_2addr_b32 v[85:86], v86 offset0:87 offset1:152
	;; [unrolled: 1-line block ×7, first 2 shown]
	v_fma_f32 v27, v27, v37, -v38
	v_fma_f32 v83, v10, v35, -v36
	v_sub_f32_e32 v108, v99, v101
	v_sub_f32_e32 v67, v100, v101
	s_delay_alu instid0(VALU_DEP_4) | instskip(NEXT) | instid1(VALU_DEP_4)
	v_add_f32_e32 v4, v27, v81
	v_sub_f32_e32 v104, v83, v102
	v_sub_f32_e32 v105, v83, v27
	;; [unrolled: 1-line block ×3, first 2 shown]
	s_wait_dscnt 0x7
	v_fma_f32 v36, -0.5, v1, v97
	s_wait_loadcnt 0x7
	v_mul_f32_e32 v1, v23, v46
	s_wait_loadcnt 0x6
	v_mul_f32_e32 v25, v21, v50
	v_fma_f32 v35, -0.5, v4, v34
	v_mul_f32_e32 v4, v26, v44
	v_mul_f32_e32 v10, v24, v48
	v_mul_f32_e32 v7, v0, v44
	s_wait_dscnt 0x5
	v_mul_f32_e32 v39, v86, v50
	v_dual_fmamk_f32 v37, v107, 0xbf737871, v35 :: v_dual_mul_f32 v40, v70, v46
	v_dual_mul_f32 v41, v6, v48 :: v_dual_fmac_f32 v4, v0, v43
	v_dual_fmac_f32 v1, v70, v45 :: v_dual_fmamk_f32 v38, v104, 0x3f737871, v36
	v_fmac_f32_e32 v25, v86, v49
	v_fmac_f32_e32 v10, v6, v47
	v_fma_f32 v0, v26, v43, -v7
	s_wait_loadcnt_dscnt 0x402
	v_mul_f32_e32 v7, v92, v56
	v_fma_f32 v21, v21, v49, -v39
	v_fma_f32 v24, v24, v47, -v41
	v_dual_mul_f32 v26, v19, v52 :: v_dual_mul_f32 v39, v22, v54
	v_mul_f32_e32 v41, v17, v56
	v_fma_f32 v23, v23, v45, -v40
	v_dual_mul_f32 v40, v20, v58 :: v_dual_sub_f32 v45, v10, v25
	v_dual_mul_f32 v6, v69, v54 :: v_dual_add_f32 v47, v4, v25
	v_dual_mul_f32 v42, v90, v52 :: v_dual_mul_f32 v43, v85, v58
	v_dual_sub_f32 v44, v1, v4 :: v_dual_sub_f32 v49, v4, v1
	v_dual_sub_f32 v48, v23, v24 :: v_dual_fmac_f32 v39, v69, v53
	v_sub_f32_e32 v50, v25, v10
	v_fmac_f32_e32 v26, v90, v51
	v_add_f32_e32 v70, v15, v0
	v_sub_f32_e32 v46, v0, v21
	v_dual_add_f32 v52, v1, v10 :: v_dual_add_f32 v69, v23, v24
	v_fma_f32 v22, v22, v53, -v6
	v_add_f32_e32 v6, v4, v88
	v_sub_f32_e32 v53, v23, v0
	v_fma_f32 v19, v19, v51, -v42
	v_sub_f32_e32 v42, v24, v21
	v_dual_add_f32 v51, v0, v21 :: v_dual_sub_f32 v54, v1, v10
	v_fmac_f32_e32 v41, v92, v55
	v_sub_f32_e32 v4, v4, v25
	v_dual_sub_f32 v56, v0, v23 :: v_dual_add_f32 v49, v49, v50
	v_dual_sub_f32 v58, v21, v24 :: v_dual_add_f32 v23, v23, v70
	v_fmac_f32_e32 v40, v85, v57
	v_fma_f32 v55, v17, v55, -v7
	v_fma_f32 v43, v20, v57, -v43
	s_wait_loadcnt 0x3
	v_mul_f32_e32 v57, v9, v62
	s_wait_dscnt 0x1
	v_dual_mul_f32 v17, v94, v62 :: v_dual_add_f32 v44, v44, v45
	v_mul_f32_e32 v45, v89, v60
	s_wait_loadcnt 0x2
	v_dual_mul_f32 v20, v18, v60 :: v_dual_mul_f32 v85, v13, v66
	v_mul_f32_e32 v86, v16, v64
	v_dual_mul_f32 v62, v91, v64 :: v_dual_fmac_f32 v57, v94, v61
	v_add_f32_e32 v60, v1, v6
	v_fma_f32 v1, -0.5, v47, v88
	v_add_f32_e32 v42, v53, v42
	v_fma_f32 v0, -0.5, v51, v15
	v_add_f32_e32 v47, v56, v58
	s_wait_dscnt 0x0
	v_mul_f32_e32 v50, v96, v66
	v_fma_f32 v6, -0.5, v69, v15
	v_add_f32_e32 v15, v39, v41
	v_fma_f32 v45, v18, v59, -v45
	v_add_f32_e32 v18, v22, v55
	v_fma_f32 v61, v9, v61, -v17
	v_add_f32_e32 v17, v19, v43
	v_fma_f32 v7, -0.5, v52, v88
	v_dual_sub_f32 v51, v26, v39 :: v_dual_sub_f32 v52, v40, v41
	v_sub_f32_e32 v69, v39, v26
	v_sub_f32_e32 v53, v22, v55
	v_dual_sub_f32 v56, v19, v43 :: v_dual_fmac_f32 v85, v96, v65
	v_fmac_f32_e32 v20, v89, v59
	v_sub_f32_e32 v58, v19, v22
	v_dual_sub_f32 v59, v43, v55 :: v_dual_sub_f32 v64, v26, v40
	v_sub_f32_e32 v66, v39, v41
	v_sub_f32_e32 v70, v41, v40
	v_dual_fmac_f32 v86, v91, v63 :: v_dual_add_f32 v9, v26, v40
	v_dual_sub_f32 v88, v22, v19 :: v_dual_add_f32 v23, v23, v24
	v_fma_f32 v62, v16, v63, -v62
	v_sub_f32_e32 v63, v55, v43
	v_dual_add_f32 v26, v26, v87 :: v_dual_add_f32 v51, v51, v52
	v_add_f32_e32 v19, v14, v19
	v_fma_f32 v50, v13, v65, -v50
	s_wait_loadcnt 0x1
	v_mul_f32_e32 v65, v11, v72
	v_mul_f32_e32 v89, v8, v74
	s_wait_loadcnt 0x0
	v_mul_f32_e32 v90, v12, v78
	v_fma_f32 v16, -0.5, v15, v87
	v_fma_f32 v15, -0.5, v18, v14
	v_mul_f32_e32 v91, v5, v76
	v_fmac_f32_e32 v89, v93, v73
	v_fma_f32 v17, -0.5, v17, v14
	v_mul_f32_e32 v78, v95, v78
	v_mul_f32_e32 v74, v93, v74
	;; [unrolled: 1-line block ×3, first 2 shown]
	v_fmamk_f32 v14, v48, 0xbf737871, v1
	v_fmac_f32_e32 v1, 0x3f737871, v48
	v_mul_f32_e32 v72, v84, v72
	v_fma_f32 v18, -0.5, v9, v87
	v_add_f32_e32 v60, v10, v60
	v_dual_add_f32 v52, v58, v59 :: v_dual_sub_f32 v93, v57, v86
	v_fmamk_f32 v10, v46, 0x3f737871, v7
	v_fmac_f32_e32 v7, 0xbf737871, v46
	v_fmamk_f32 v13, v54, 0x3f737871, v0
	v_dual_fmac_f32 v0, 0xbf737871, v54 :: v_dual_fmac_f32 v65, v84, v71
	v_fmamk_f32 v9, v4, 0xbf737871, v6
	v_dual_fmac_f32 v6, 0x3f737871, v4 :: v_dual_fmac_f32 v91, v82, v75
	v_dual_add_f32 v58, v69, v70 :: v_dual_add_f32 v59, v88, v63
	v_dual_add_f32 v24, v39, v26 :: v_dual_fmac_f32 v7, 0xbf167918, v48
	v_sub_f32_e32 v39, v85, v86
	v_sub_f32_e32 v63, v61, v62
	;; [unrolled: 1-line block ×3, first 2 shown]
	v_add_f32_e32 v22, v19, v22
	v_dual_add_f32 v70, v57, v86 :: v_dual_fmac_f32 v13, 0xbf167918, v4
	v_dual_sub_f32 v84, v45, v61 :: v_dual_fmac_f32 v9, 0xbf167918, v54
	v_sub_f32_e32 v87, v50, v62
	v_add_f32_e32 v88, v61, v62
	v_dual_fmac_f32 v90, v95, v77 :: v_dual_fmamk_f32 v19, v66, 0x3f737871, v17
	v_fma_f32 v71, v11, v71, -v72
	v_sub_f32_e32 v95, v61, v45
	v_fma_f32 v77, v12, v77, -v78
	v_dual_add_f32 v96, v45, v50 :: v_dual_add_f32 v45, v3, v45
	v_fma_f32 v8, v8, v73, -v74
	v_fma_f32 v73, v5, v75, -v76
	v_dual_sub_f32 v26, v20, v57 :: v_dual_fmac_f32 v1, 0xbf167918, v46
	v_dual_sub_f32 v92, v20, v85 :: v_dual_fmac_f32 v17, 0xbf737871, v66
	v_sub_f32_e32 v94, v86, v85
	v_add_f32_e32 v72, v20, v85
	v_sub_f32_e32 v78, v62, v50
	v_dual_fmac_f32 v14, 0x3f167918, v46 :: v_dual_add_f32 v45, v45, v61
	v_add_f32_e32 v5, v25, v60
	v_sub_f32_e32 v82, v57, v20
	v_fmac_f32_e32 v0, 0x3f167918, v4
	v_dual_fmac_f32 v6, 0x3f167918, v54 :: v_dual_add_f32 v75, v8, v73
	v_dual_add_f32 v4, v23, v21 :: v_dual_fmamk_f32 v11, v64, 0xbf737871, v15
	v_add_f32_e32 v25, v41, v24
	v_add_f32_e32 v41, v22, v55
	v_fma_f32 v22, -0.5, v70, v31
	v_add_f32_e32 v55, v84, v87
	v_add_f32_e32 v110, v20, v31
	v_fma_f32 v21, -0.5, v88, v3
	v_sub_f32_e32 v61, v71, v77
	v_fma_f32 v23, -0.5, v96, v3
	v_dual_fmamk_f32 v12, v56, 0x3f737871, v16 :: v_dual_sub_f32 v87, v89, v65
	v_fmamk_f32 v20, v53, 0xbf737871, v18
	v_fmac_f32_e32 v18, 0x3f737871, v53
	v_fmac_f32_e32 v16, 0xbf737871, v56
	v_dual_fmac_f32 v15, 0x3f737871, v64 :: v_dual_add_f32 v54, v26, v39
	v_dual_fmac_f32 v1, 0x3e9e377a, v44 :: v_dual_add_f32 v60, v82, v94
	v_fmac_f32_e32 v7, 0x3e9e377a, v49
	v_fma_f32 v24, -0.5, v72, v31
	v_dual_add_f32 v31, v95, v78 :: v_dual_fmac_f32 v10, 0x3f167918, v48
	v_add_f32_e32 v3, v57, v110
	v_dual_sub_f32 v46, v65, v89 :: v_dual_fmac_f32 v13, 0x3e9e377a, v42
	v_dual_sub_f32 v48, v90, v91 :: v_dual_fmac_f32 v11, 0xbf167918, v66
	v_dual_add_f32 v57, v89, v91 :: v_dual_sub_f32 v72, v71, v8
	v_fmac_f32_e32 v15, 0x3f167918, v66
	v_dual_sub_f32 v76, v65, v90 :: v_dual_fmac_f32 v17, 0x3f167918, v64
	v_sub_f32_e32 v78, v89, v91
	v_dual_add_f32 v82, v65, v30 :: v_dual_fmamk_f32 v39, v92, 0xbf737871, v21
	v_dual_add_f32 v84, v2, v71 :: v_dual_add_f32 v65, v65, v90
	v_dual_sub_f32 v94, v8, v71 :: v_dual_fmac_f32 v21, 0x3f737871, v92
	v_dual_add_f32 v71, v71, v77 :: v_dual_fmac_f32 v14, 0x3e9e377a, v44
	v_dual_add_f32 v45, v45, v62 :: v_dual_add_f32 v26, v40, v25
	v_fmac_f32_e32 v11, 0x3e9e377a, v52
	v_dual_add_f32 v25, v43, v41 :: v_dual_fmamk_f32 v40, v69, 0x3f737871, v22
	s_delay_alu instid0(VALU_DEP_3)
	v_add_f32_e32 v45, v50, v45
	v_fmamk_f32 v41, v93, 0x3f737871, v23
	v_fmac_f32_e32 v23, 0xbf737871, v93
	v_fma_f32 v43, -0.5, v75, v2
	v_dual_sub_f32 v70, v8, v73 :: v_dual_fmac_f32 v9, 0x3e9e377a, v47
	v_dual_sub_f32 v88, v91, v90 :: v_dual_add_f32 v3, v86, v3
	v_sub_f32_e32 v95, v73, v77
	v_fmac_f32_e32 v10, 0x3e9e377a, v49
	v_fmac_f32_e32 v0, 0x3e9e377a, v42
	v_dual_fmac_f32 v6, 0x3e9e377a, v47 :: v_dual_add_f32 v49, v89, v82
	v_dual_fmac_f32 v12, 0x3f167918, v53 :: v_dual_fmac_f32 v23, 0x3f167918, v92
	v_dual_fmac_f32 v20, 0x3f167918, v56 :: v_dual_fmac_f32 v21, 0x3f167918, v93
	;; [unrolled: 1-line block ×4, first 2 shown]
	v_fmamk_f32 v42, v63, 0xbf737871, v24
	v_dual_fmac_f32 v24, 0x3f737871, v63 :: v_dual_fmamk_f32 v47, v76, 0x3f737871, v43
	v_fma_f32 v44, -0.5, v57, v30
	v_dual_add_f32 v8, v84, v8 :: v_dual_fmac_f32 v17, 0x3e9e377a, v59
	v_dual_fmac_f32 v30, -0.5, v65 :: v_dual_fmac_f32 v15, 0x3e9e377a, v52
	s_delay_alu instid0(VALU_DEP_4)
	v_dual_fmac_f32 v2, -0.5, v71 :: v_dual_fmac_f32 v47, 0x3f167918, v78
	v_fmac_f32_e32 v40, 0x3f167918, v63
	v_dual_sub_f32 v74, v77, v73 :: v_dual_fmac_f32 v19, 0xbf167918, v64
	v_add_f32_e32 v53, v46, v48
	v_add_f32_e32 v62, v94, v95
	v_dual_fmac_f32 v20, 0x3e9e377a, v58 :: v_dual_fmac_f32 v39, 0x3e9e377a, v55
	v_dual_fmac_f32 v18, 0x3e9e377a, v58 :: v_dual_fmac_f32 v41, 0x3e9e377a, v31
	v_dual_add_f32 v46, v85, v3 :: v_dual_add_f32 v3, v91, v49
	v_dual_fmamk_f32 v49, v78, 0x3f737871, v2 :: v_dual_add_f32 v8, v8, v73
	v_fmac_f32_e32 v23, 0x3e9e377a, v31
	v_fmamk_f32 v50, v70, 0xbf737871, v30
	v_fmac_f32_e32 v21, 0x3e9e377a, v55
	v_sub_f32_e32 v55, v101, v100
	v_dual_sub_f32 v31, v99, v98 :: v_dual_fmamk_f32 v48, v61, 0xbf737871, v44
	v_fmac_f32_e32 v44, 0x3f737871, v61
	v_fmac_f32_e32 v40, 0x3e9e377a, v54
	;; [unrolled: 1-line block ×3, first 2 shown]
	v_dual_add_f32 v56, v72, v74 :: v_dual_fmac_f32 v19, 0x3e9e377a, v59
	v_fmac_f32_e32 v12, 0x3e9e377a, v51
	v_dual_fmac_f32 v24, 0xbf167918, v69 :: v_dual_fmac_f32 v49, 0xbf167918, v76
	v_fmac_f32_e32 v16, 0x3e9e377a, v51
	v_fmac_f32_e32 v43, 0xbf737871, v76
	v_dual_fmac_f32 v42, 0x3f167918, v69 :: v_dual_add_f32 v51, v77, v8
	v_fmac_f32_e32 v44, 0x3f167918, v70
	v_dual_add_f32 v8, v105, v106 :: v_dual_fmac_f32 v37, 0xbf167918, v108
	v_add_f32_e32 v52, v90, v3
	v_dual_add_f32 v3, v32, v67 :: v_dual_add_f32 v32, v83, v102
	v_fmac_f32_e32 v35, 0x3f737871, v107
	v_dual_add_f32 v31, v31, v55 :: v_dual_fmac_f32 v48, 0xbf167918, v70
	v_fmac_f32_e32 v44, 0x3e9e377a, v53
	v_dual_fmac_f32 v22, 0xbf167918, v63 :: v_dual_fmac_f32 v43, 0xbf167918, v78
	s_delay_alu instid0(VALU_DEP_3) | instskip(SKIP_2) | instid1(VALU_DEP_4)
	v_dual_add_f32 v57, v87, v88 :: v_dual_fmac_f32 v48, 0x3e9e377a, v53
	v_fma_f32 v53, -0.5, v32, v34
	v_fmac_f32_e32 v30, 0x3f737871, v70
	v_dual_fmac_f32 v22, 0x3e9e377a, v54 :: v_dual_fmac_f32 v43, 0x3e9e377a, v56
	v_fma_f32 v54, -0.5, v109, v97
	s_delay_alu instid0(VALU_DEP_4) | instskip(NEXT) | instid1(VALU_DEP_4)
	v_fmamk_f32 v55, v108, 0x3f737871, v53
	v_fmac_f32_e32 v30, 0xbf167918, v61
	v_fmac_f32_e32 v53, 0xbf737871, v108
	;; [unrolled: 1-line block ×3, first 2 shown]
	v_dual_fmac_f32 v38, 0x3f167918, v103 :: v_dual_fmac_f32 v35, 0x3f167918, v108
	v_sub_f32_e32 v32, v27, v83
	v_fmac_f32_e32 v55, 0xbf167918, v107
	v_fmac_f32_e32 v30, 0x3e9e377a, v57
	;; [unrolled: 1-line block ×3, first 2 shown]
	v_dual_fmac_f32 v35, 0x3e9e377a, v8 :: v_dual_fmac_f32 v50, 0x3e9e377a, v57
	v_sub_f32_e32 v57, v81, v102
	v_fmac_f32_e32 v47, 0x3e9e377a, v56
	v_fmamk_f32 v56, v103, 0xbf737871, v54
	v_fmac_f32_e32 v54, 0x3f737871, v103
	v_fmac_f32_e32 v36, 0xbf737871, v104
	v_add_f32_e32 v34, v34, v83
	v_dual_fmac_f32 v2, 0xbf737871, v78 :: v_dual_add_f32 v59, v32, v57
	v_mul_hi_u32 v57, 0xc9a633fd, v68
	v_fmac_f32_e32 v56, 0x3f167918, v104
	v_fmac_f32_e32 v54, 0xbf167918, v104
	v_dual_fmac_f32 v42, 0x3e9e377a, v60 :: v_dual_add_f32 v27, v34, v27
	v_fmac_f32_e32 v36, 0xbf167918, v103
	v_add_f32_e32 v32, v98, v97
	v_add_nc_u32_e32 v34, 0x41, v68
	v_fmac_f32_e32 v56, 0x3e9e377a, v31
	v_fmac_f32_e32 v54, 0x3e9e377a, v31
	v_lshrrev_b32_e32 v31, 8, v57
	v_fmac_f32_e32 v38, 0x3e9e377a, v3
	v_dual_fmac_f32 v36, 0x3e9e377a, v3 :: v_dual_add_f32 v3, v99, v32
	v_fmac_f32_e32 v24, 0x3e9e377a, v60
	v_mul_hi_u32 v60, 0xc9a633fd, v34
	v_dual_fmac_f32 v2, 0x3f167918, v76 :: v_dual_add_f32 v27, v27, v81
	v_mul_u32_u24_e32 v61, 0x145, v31
	v_lshlrev_b64_e32 v[31:32], 3, v[79:80]
	v_add_f32_e32 v3, v101, v3
	v_fmac_f32_e32 v37, 0x3e9e377a, v8
	v_add_f32_e32 v57, v102, v27
	v_lshlrev_b64_e32 v[27:28], 3, v[28:29]
	v_lshrrev_b32_e32 v29, 8, v60
	v_add_f32_e32 v58, v100, v3
	v_sub_nc_u32_e32 v3, v68, v61
	v_add_co_u32 v31, vcc_lo, s6, v31
	s_wait_alu 0xfffd
	v_add_co_ci_u32_e32 v32, vcc_lo, s7, v32, vcc_lo
	v_mul_u32_u24_e32 v60, 0x145, v29
	v_lshlrev_b32_e32 v3, 3, v3
	v_add_co_u32 v61, vcc_lo, v31, v27
	v_add_nc_u32_e32 v8, 0x82, v68
	v_fmac_f32_e32 v49, 0x3e9e377a, v62
	v_dual_fmac_f32 v2, 0x3e9e377a, v62 :: v_dual_fmac_f32 v55, 0x3e9e377a, v59
	s_wait_alu 0xfffd
	v_add_co_ci_u32_e32 v62, vcc_lo, v32, v28, vcc_lo
	v_sub_nc_u32_e32 v31, v34, v60
	v_add_co_u32 v27, vcc_lo, v61, v3
	v_mul_hi_u32 v3, 0xc9a633fd, v8
	s_wait_alu 0xfffd
	v_add_co_ci_u32_e32 v28, vcc_lo, 0, v62, vcc_lo
	v_mad_u32_u24 v32, 0x659, v29, v31
	v_fmac_f32_e32 v53, 0x3e9e377a, v59
	s_clause 0x4
	global_store_b64 v[27:28], v[57:58], off
	global_store_b64 v[27:28], v[35:36], off offset:2600
	global_store_b64 v[27:28], v[53:54], off offset:5200
	;; [unrolled: 1-line block ×4, first 2 shown]
	v_lshlrev_b64_e32 v[27:28], 3, v[32:33]
	v_add_nc_u32_e32 v34, 0x145, v32
	v_add_nc_u32_e32 v36, 0x28a, v32
	;; [unrolled: 1-line block ×4, first 2 shown]
	v_lshrrev_b32_e32 v31, 8, v3
	v_mov_b32_e32 v3, v30
	v_mov_b32_e32 v35, v33
	;; [unrolled: 1-line block ×3, first 2 shown]
	v_lshlrev_b64_e32 v[29:30], 3, v[32:33]
	v_mul_u32_u24_e32 v32, 0x145, v31
	v_add_co_u32 v27, vcc_lo, v61, v27
	v_lshlrev_b64_e32 v[34:35], 3, v[34:35]
	v_lshlrev_b64_e32 v[36:37], 3, v[36:37]
	s_delay_alu instid0(VALU_DEP_4) | instskip(SKIP_2) | instid1(VALU_DEP_4)
	v_sub_nc_u32_e32 v8, v8, v32
	s_wait_alu 0xfffd
	v_add_co_ci_u32_e32 v28, vcc_lo, v62, v28, vcc_lo
	v_add_co_u32 v34, vcc_lo, v61, v34
	s_delay_alu instid0(VALU_DEP_3) | instskip(SKIP_4) | instid1(VALU_DEP_3)
	v_mad_u32_u24 v32, 0x659, v31, v8
	v_mov_b32_e32 v54, v33
	s_wait_alu 0xfffd
	v_add_co_ci_u32_e32 v35, vcc_lo, v62, v35, vcc_lo
	v_add_co_u32 v36, vcc_lo, v61, v36
	v_lshlrev_b64_e32 v[53:54], 3, v[53:54]
	s_wait_alu 0xfffd
	v_add_co_ci_u32_e32 v37, vcc_lo, v62, v37, vcc_lo
	v_add_nc_u32_e32 v8, 0xc3, v68
	s_delay_alu instid0(VALU_DEP_3)
	v_add_co_u32 v53, vcc_lo, v61, v53
	s_wait_alu 0xfffd
	v_add_co_ci_u32_e32 v54, vcc_lo, v62, v54, vcc_lo
	v_add_co_u32 v29, vcc_lo, v61, v29
	s_wait_alu 0xfffd
	v_add_co_ci_u32_e32 v30, vcc_lo, v62, v30, vcc_lo
	v_mul_hi_u32 v31, 0xc9a633fd, v8
	s_clause 0x4
	global_store_b64 v[27:28], v[51:52], off
	global_store_b64 v[34:35], v[47:48], off
	;; [unrolled: 1-line block ×5, first 2 shown]
	v_add_nc_u32_e32 v29, 0x28a, v32
	v_dual_mov_b32 v28, v33 :: v_dual_add_nc_u32 v27, 0x145, v32
	v_lshlrev_b64_e32 v[2:3], 3, v[32:33]
	v_mov_b32_e32 v30, v33
	v_dual_mov_b32 v35, v33 :: v_dual_add_nc_u32 v34, 0x3cf, v32
	s_delay_alu instid0(VALU_DEP_4)
	v_lshlrev_b64_e32 v[27:28], 3, v[27:28]
	v_lshrrev_b32_e32 v38, 8, v31
	v_add_co_u32 v2, vcc_lo, v61, v2
	v_lshlrev_b64_e32 v[29:30], 3, v[29:30]
	v_add_nc_u32_e32 v32, 0x514, v32
	s_wait_alu 0xfffd
	v_add_co_ci_u32_e32 v3, vcc_lo, v62, v3, vcc_lo
	v_add_co_u32 v27, vcc_lo, v61, v27
	v_lshlrev_b64_e32 v[34:35], 3, v[34:35]
	v_mul_u32_u24_e32 v36, 0x145, v38
	s_wait_alu 0xfffd
	v_add_co_ci_u32_e32 v28, vcc_lo, v62, v28, vcc_lo
	v_add_co_u32 v29, vcc_lo, v61, v29
	v_lshlrev_b64_e32 v[31:32], 3, v[32:33]
	s_wait_alu 0xfffd
	v_add_co_ci_u32_e32 v30, vcc_lo, v62, v30, vcc_lo
	v_add_co_u32 v34, vcc_lo, v61, v34
	v_sub_nc_u32_e32 v8, v8, v36
	s_wait_alu 0xfffd
	v_add_co_ci_u32_e32 v35, vcc_lo, v62, v35, vcc_lo
	v_add_co_u32 v36, vcc_lo, v61, v31
	s_wait_alu 0xfffd
	v_add_co_ci_u32_e32 v37, vcc_lo, v62, v32, vcc_lo
	v_mad_u32_u24 v32, 0x659, v38, v8
	v_add_nc_u32_e32 v8, 0x104, v68
	s_clause 0x4
	global_store_b64 v[2:3], v[45:46], off
	global_store_b64 v[27:28], v[21:22], off
	;; [unrolled: 1-line block ×5, first 2 shown]
	v_dual_mov_b32 v22, v33 :: v_dual_mov_b32 v35, v33
	v_add_nc_u32_e32 v27, 0x3cf, v32
	v_mul_hi_u32 v29, 0xc9a633fd, v8
	v_lshlrev_b64_e32 v[2:3], 3, v[32:33]
	v_add_nc_u32_e32 v21, 0x145, v32
	v_add_nc_u32_e32 v23, 0x28a, v32
	;; [unrolled: 1-line block ×3, first 2 shown]
	s_delay_alu instid0(VALU_DEP_3) | instskip(SKIP_1) | instid1(VALU_DEP_3)
	v_lshlrev_b64_e32 v[21:22], 3, v[21:22]
	v_lshrrev_b32_e32 v31, 8, v29
	v_lshlrev_b64_e32 v[29:30], 3, v[32:33]
	v_add_co_u32 v2, vcc_lo, v61, v2
	s_wait_alu 0xfffd
	v_add_co_ci_u32_e32 v3, vcc_lo, v62, v3, vcc_lo
	v_mul_u32_u24_e32 v34, 0x145, v31
	v_add_co_u32 v21, vcc_lo, v61, v21
	s_wait_alu 0xfffd
	v_add_co_ci_u32_e32 v22, vcc_lo, v62, v22, vcc_lo
	s_delay_alu instid0(VALU_DEP_3) | instskip(NEXT) | instid1(VALU_DEP_1)
	v_sub_nc_u32_e32 v8, v8, v34
	v_mad_u32_u24 v32, 0x659, v31, v8
	v_mov_b32_e32 v24, v33
	v_mov_b32_e32 v28, v33
	s_delay_alu instid0(VALU_DEP_3) | instskip(NEXT) | instid1(VALU_DEP_3)
	v_add_nc_u32_e32 v34, 0x145, v32
	v_lshlrev_b64_e32 v[23:24], 3, v[23:24]
	s_delay_alu instid0(VALU_DEP_3) | instskip(NEXT) | instid1(VALU_DEP_2)
	v_lshlrev_b64_e32 v[27:28], 3, v[27:28]
	v_add_co_u32 v23, vcc_lo, v61, v23
	s_wait_alu 0xfffd
	s_delay_alu instid0(VALU_DEP_3) | instskip(NEXT) | instid1(VALU_DEP_3)
	v_add_co_ci_u32_e32 v24, vcc_lo, v62, v24, vcc_lo
	v_add_co_u32 v27, vcc_lo, v61, v27
	s_wait_alu 0xfffd
	v_add_co_ci_u32_e32 v28, vcc_lo, v62, v28, vcc_lo
	v_add_co_u32 v29, vcc_lo, v61, v29
	s_wait_alu 0xfffd
	v_add_co_ci_u32_e32 v30, vcc_lo, v62, v30, vcc_lo
	s_clause 0x3
	global_store_b64 v[2:3], v[25:26], off
	global_store_b64 v[21:22], v[15:16], off
	;; [unrolled: 1-line block ×4, first 2 shown]
	v_add_nc_u32_e32 v17, 0x3cf, v32
	v_lshlrev_b64_e32 v[2:3], 3, v[32:33]
	v_dual_mov_b32 v16, v33 :: v_dual_add_nc_u32 v15, 0x28a, v32
	global_store_b64 v[29:30], v[11:12], off
	v_lshlrev_b64_e32 v[11:12], 3, v[34:35]
	v_mov_b32_e32 v18, v33
	v_add_co_u32 v2, vcc_lo, v61, v2
	v_lshlrev_b64_e32 v[15:16], 3, v[15:16]
	v_add_nc_u32_e32 v32, 0x514, v32
	s_wait_alu 0xfffd
	v_add_co_ci_u32_e32 v3, vcc_lo, v62, v3, vcc_lo
	v_add_co_u32 v11, vcc_lo, v61, v11
	v_lshlrev_b64_e32 v[17:18], 3, v[17:18]
	s_wait_alu 0xfffd
	v_add_co_ci_u32_e32 v12, vcc_lo, v62, v12, vcc_lo
	v_add_co_u32 v15, vcc_lo, v61, v15
	v_lshlrev_b64_e32 v[19:20], 3, v[32:33]
	s_wait_alu 0xfffd
	v_add_co_ci_u32_e32 v16, vcc_lo, v62, v16, vcc_lo
	v_add_co_u32 v17, vcc_lo, v61, v17
	s_wait_alu 0xfffd
	v_add_co_ci_u32_e32 v18, vcc_lo, v62, v18, vcc_lo
	v_add_co_u32 v19, vcc_lo, v61, v19
	s_wait_alu 0xfffd
	v_add_co_ci_u32_e32 v20, vcc_lo, v62, v20, vcc_lo
	s_clause 0x4
	global_store_b64 v[2:3], v[4:5], off
	global_store_b64 v[11:12], v[6:7], off
	;; [unrolled: 1-line block ×5, first 2 shown]
.LBB0_21:
	s_nop 0
	s_sendmsg sendmsg(MSG_DEALLOC_VGPRS)
	s_endpgm
	.section	.rodata,"a",@progbits
	.p2align	6, 0x0
	.amdhsa_kernel fft_rtc_fwd_len1625_factors_13_5_5_5_wgs_130_tpt_65_halfLds_sp_op_CI_CI_unitstride_sbrr_dirReg
		.amdhsa_group_segment_fixed_size 0
		.amdhsa_private_segment_fixed_size 0
		.amdhsa_kernarg_size 104
		.amdhsa_user_sgpr_count 2
		.amdhsa_user_sgpr_dispatch_ptr 0
		.amdhsa_user_sgpr_queue_ptr 0
		.amdhsa_user_sgpr_kernarg_segment_ptr 1
		.amdhsa_user_sgpr_dispatch_id 0
		.amdhsa_user_sgpr_private_segment_size 0
		.amdhsa_wavefront_size32 1
		.amdhsa_uses_dynamic_stack 0
		.amdhsa_enable_private_segment 0
		.amdhsa_system_sgpr_workgroup_id_x 1
		.amdhsa_system_sgpr_workgroup_id_y 0
		.amdhsa_system_sgpr_workgroup_id_z 0
		.amdhsa_system_sgpr_workgroup_info 0
		.amdhsa_system_vgpr_workitem_id 0
		.amdhsa_next_free_vgpr 122
		.amdhsa_next_free_sgpr 39
		.amdhsa_reserve_vcc 1
		.amdhsa_float_round_mode_32 0
		.amdhsa_float_round_mode_16_64 0
		.amdhsa_float_denorm_mode_32 3
		.amdhsa_float_denorm_mode_16_64 3
		.amdhsa_fp16_overflow 0
		.amdhsa_workgroup_processor_mode 1
		.amdhsa_memory_ordered 1
		.amdhsa_forward_progress 0
		.amdhsa_round_robin_scheduling 0
		.amdhsa_exception_fp_ieee_invalid_op 0
		.amdhsa_exception_fp_denorm_src 0
		.amdhsa_exception_fp_ieee_div_zero 0
		.amdhsa_exception_fp_ieee_overflow 0
		.amdhsa_exception_fp_ieee_underflow 0
		.amdhsa_exception_fp_ieee_inexact 0
		.amdhsa_exception_int_div_zero 0
	.end_amdhsa_kernel
	.text
.Lfunc_end0:
	.size	fft_rtc_fwd_len1625_factors_13_5_5_5_wgs_130_tpt_65_halfLds_sp_op_CI_CI_unitstride_sbrr_dirReg, .Lfunc_end0-fft_rtc_fwd_len1625_factors_13_5_5_5_wgs_130_tpt_65_halfLds_sp_op_CI_CI_unitstride_sbrr_dirReg
                                        ; -- End function
	.section	.AMDGPU.csdata,"",@progbits
; Kernel info:
; codeLenInByte = 18804
; NumSgprs: 41
; NumVgprs: 122
; ScratchSize: 0
; MemoryBound: 0
; FloatMode: 240
; IeeeMode: 1
; LDSByteSize: 0 bytes/workgroup (compile time only)
; SGPRBlocks: 5
; VGPRBlocks: 15
; NumSGPRsForWavesPerEU: 41
; NumVGPRsForWavesPerEU: 122
; Occupancy: 10
; WaveLimiterHint : 1
; COMPUTE_PGM_RSRC2:SCRATCH_EN: 0
; COMPUTE_PGM_RSRC2:USER_SGPR: 2
; COMPUTE_PGM_RSRC2:TRAP_HANDLER: 0
; COMPUTE_PGM_RSRC2:TGID_X_EN: 1
; COMPUTE_PGM_RSRC2:TGID_Y_EN: 0
; COMPUTE_PGM_RSRC2:TGID_Z_EN: 0
; COMPUTE_PGM_RSRC2:TIDIG_COMP_CNT: 0
	.text
	.p2alignl 7, 3214868480
	.fill 96, 4, 3214868480
	.type	__hip_cuid_34f71aadaac0860a,@object ; @__hip_cuid_34f71aadaac0860a
	.section	.bss,"aw",@nobits
	.globl	__hip_cuid_34f71aadaac0860a
__hip_cuid_34f71aadaac0860a:
	.byte	0                               ; 0x0
	.size	__hip_cuid_34f71aadaac0860a, 1

	.ident	"AMD clang version 19.0.0git (https://github.com/RadeonOpenCompute/llvm-project roc-6.4.0 25133 c7fe45cf4b819c5991fe208aaa96edf142730f1d)"
	.section	".note.GNU-stack","",@progbits
	.addrsig
	.addrsig_sym __hip_cuid_34f71aadaac0860a
	.amdgpu_metadata
---
amdhsa.kernels:
  - .args:
      - .actual_access:  read_only
        .address_space:  global
        .offset:         0
        .size:           8
        .value_kind:     global_buffer
      - .offset:         8
        .size:           8
        .value_kind:     by_value
      - .actual_access:  read_only
        .address_space:  global
        .offset:         16
        .size:           8
        .value_kind:     global_buffer
      - .actual_access:  read_only
        .address_space:  global
        .offset:         24
        .size:           8
        .value_kind:     global_buffer
      - .actual_access:  read_only
        .address_space:  global
        .offset:         32
        .size:           8
        .value_kind:     global_buffer
      - .offset:         40
        .size:           8
        .value_kind:     by_value
      - .actual_access:  read_only
        .address_space:  global
        .offset:         48
        .size:           8
        .value_kind:     global_buffer
      - .actual_access:  read_only
        .address_space:  global
        .offset:         56
        .size:           8
        .value_kind:     global_buffer
      - .offset:         64
        .size:           4
        .value_kind:     by_value
      - .actual_access:  read_only
        .address_space:  global
        .offset:         72
        .size:           8
        .value_kind:     global_buffer
      - .actual_access:  read_only
        .address_space:  global
        .offset:         80
        .size:           8
        .value_kind:     global_buffer
      - .actual_access:  read_only
        .address_space:  global
        .offset:         88
        .size:           8
        .value_kind:     global_buffer
      - .actual_access:  write_only
        .address_space:  global
        .offset:         96
        .size:           8
        .value_kind:     global_buffer
    .group_segment_fixed_size: 0
    .kernarg_segment_align: 8
    .kernarg_segment_size: 104
    .language:       OpenCL C
    .language_version:
      - 2
      - 0
    .max_flat_workgroup_size: 130
    .name:           fft_rtc_fwd_len1625_factors_13_5_5_5_wgs_130_tpt_65_halfLds_sp_op_CI_CI_unitstride_sbrr_dirReg
    .private_segment_fixed_size: 0
    .sgpr_count:     41
    .sgpr_spill_count: 0
    .symbol:         fft_rtc_fwd_len1625_factors_13_5_5_5_wgs_130_tpt_65_halfLds_sp_op_CI_CI_unitstride_sbrr_dirReg.kd
    .uniform_work_group_size: 1
    .uses_dynamic_stack: false
    .vgpr_count:     122
    .vgpr_spill_count: 0
    .wavefront_size: 32
    .workgroup_processor_mode: 1
amdhsa.target:   amdgcn-amd-amdhsa--gfx1201
amdhsa.version:
  - 1
  - 2
...

	.end_amdgpu_metadata
